;; amdgpu-corpus repo=ROCm/hipCUB kind=compiled arch=gfx906 opt=O3
	.amdgcn_target "amdgcn-amd-amdhsa--gfx906"
	.amdhsa_code_object_version 6
	.section	.text._Z9sort_keysILj256ELj7E12hip_bfloat16N10test_utils4lessEEvPT1_T2_,"axG",@progbits,_Z9sort_keysILj256ELj7E12hip_bfloat16N10test_utils4lessEEvPT1_T2_,comdat
	.protected	_Z9sort_keysILj256ELj7E12hip_bfloat16N10test_utils4lessEEvPT1_T2_ ; -- Begin function _Z9sort_keysILj256ELj7E12hip_bfloat16N10test_utils4lessEEvPT1_T2_
	.globl	_Z9sort_keysILj256ELj7E12hip_bfloat16N10test_utils4lessEEvPT1_T2_
	.p2align	8
	.type	_Z9sort_keysILj256ELj7E12hip_bfloat16N10test_utils4lessEEvPT1_T2_,@function
_Z9sort_keysILj256ELj7E12hip_bfloat16N10test_utils4lessEEvPT1_T2_: ; @_Z9sort_keysILj256ELj7E12hip_bfloat16N10test_utils4lessEEvPT1_T2_
; %bb.0:
	s_load_dwordx2 s[0:1], s[4:5], 0x0
	s_mul_i32 s2, s6, 0x700
	s_mov_b32 s3, 0
	s_lshl_b64 s[2:3], s[2:3], 1
	v_mul_u32_u24_e32 v0, 7, v0
	s_waitcnt lgkmcnt(0)
	s_add_u32 s0, s0, s2
	s_addc_u32 s1, s1, s3
	v_lshlrev_b32_e32 v3, 1, v0
	global_load_dwordx3 v[0:2], v3, s[0:1]
	global_load_ushort v5, v3, s[0:1] offset:12
	v_mov_b32_e32 v4, s1
	v_add_co_u32_e32 v3, vcc, s0, v3
	v_addc_co_u32_e32 v4, vcc, 0, v4, vcc
	s_waitcnt vmcnt(1)
	v_and_b32_e32 v7, 0xffff0000, v0
	v_lshlrev_b32_e32 v8, 16, v0
	v_and_b32_e32 v9, 0xffff0000, v1
	v_lshlrev_b32_e32 v11, 16, v1
	;; [unrolled: 2-line block ×3, first 2 shown]
	v_lshrrev_b32_e32 v10, 16, v0
	v_lshrrev_b32_e32 v12, 16, v1
	;; [unrolled: 1-line block ×3, first 2 shown]
	v_cmp_lt_f32_e64 s[0:1], v7, v8
	v_cmp_lt_f32_e64 s[2:3], v9, v11
	v_cmp_lt_f32_e32 vcc, v13, v14
	v_cndmask_b32_e64 v15, v10, v0, s[0:1]
	v_cndmask_b32_e64 v8, v12, v1, s[2:3]
	v_cndmask_b32_e32 v9, v2, v6, vcc
	v_cndmask_b32_e64 v7, v0, v10, s[0:1]
	v_cndmask_b32_e64 v0, v1, v12, s[2:3]
	v_lshlrev_b32_e32 v1, 16, v15
	v_lshlrev_b32_e32 v10, 16, v9
	v_lshlrev_b32_e32 v11, 16, v8
	v_lshlrev_b32_e32 v12, 16, v0
	v_cmp_lt_f32_e64 s[0:1], v10, v11
	v_cmp_lt_f32_e64 s[2:3], v12, v1
	v_cndmask_b32_e64 v10, v8, v9, s[0:1]
	v_cndmask_b32_e64 v12, v0, v15, s[2:3]
	;; [unrolled: 1-line block ×3, first 2 shown]
	v_lshlrev_b32_e32 v13, 16, v7
	v_lshlrev_b32_e32 v1, 16, v10
	;; [unrolled: 1-line block ×4, first 2 shown]
	v_cmp_lt_f32_e64 s[2:3], v1, v0
	v_cmp_lt_f32_e64 s[4:5], v15, v13
	v_cndmask_b32_e64 v11, v12, v10, s[2:3]
	v_cndmask_b32_e64 v1, v14, v7, s[4:5]
	v_lshlrev_b32_e32 v13, 16, v11
	v_lshlrev_b32_e32 v16, 16, v1
	v_mov_b32_e32 v15, v13
	v_cmp_lt_f32_e64 s[6:7], v13, v16
	v_mov_b32_e32 v0, v11
	s_and_saveexec_b64 s[8:9], s[6:7]
; %bb.1:
	v_mov_b32_e32 v15, v16
	v_mov_b32_e32 v16, v13
	;; [unrolled: 1-line block ×4, first 2 shown]
; %bb.2:
	s_or_b64 exec, exec, s[8:9]
	v_cndmask_b32_e32 v11, v6, v2, vcc
	v_lshlrev_b32_e32 v2, 16, v11
	s_waitcnt vmcnt(0)
	v_lshlrev_b32_e32 v6, 16, v5
	v_cmp_lt_f32_e32 vcc, v6, v2
	v_cndmask_b32_e64 v8, v9, v8, s[0:1]
	v_cndmask_b32_e32 v13, v11, v5, vcc
	v_lshlrev_b32_e32 v2, 16, v13
	v_lshlrev_b32_e32 v6, 16, v8
	v_cndmask_b32_e64 v10, v10, v12, s[2:3]
	v_cmp_lt_f32_e64 s[2:3], v2, v6
	v_cndmask_b32_e64 v17, v7, v14, s[4:5]
	v_cndmask_b32_e64 v14, v8, v13, s[2:3]
	v_lshlrev_b32_e32 v2, 16, v14
	v_lshlrev_b32_e32 v6, 16, v10
	v_cmp_lt_f32_e64 s[0:1], v2, v6
	v_cndmask_b32_e64 v12, v10, v14, s[0:1]
	v_lshlrev_b32_e32 v2, 16, v17
	v_lshlrev_b32_e32 v6, 16, v12
	v_cmp_lt_f32_e64 s[6:7], v16, v2
	v_cmp_gt_f32_e64 s[4:5], v15, v6
	v_cndmask_b32_e64 v2, v1, v17, s[6:7]
	v_cndmask_b32_e64 v15, v0, v12, s[4:5]
	v_lshlrev_b32_e32 v16, 16, v15
	v_lshlrev_b32_e32 v7, 16, v2
	v_cmp_lt_f32_e64 s[8:9], v16, v7
	v_mov_b32_e32 v6, v16
	v_mov_b32_e32 v9, v15
	s_and_saveexec_b64 s[10:11], s[8:9]
; %bb.3:
	v_mov_b32_e32 v6, v7
	v_mov_b32_e32 v7, v16
	;; [unrolled: 1-line block ×4, first 2 shown]
; %bb.4:
	s_or_b64 exec, exec, s[10:11]
	v_cndmask_b32_e32 v5, v5, v11, vcc
	v_cndmask_b32_e64 v8, v13, v8, s[2:3]
	v_lshlrev_b32_e32 v11, 16, v5
	v_lshlrev_b32_e32 v13, 16, v8
	v_cmp_lt_f32_e32 vcc, v11, v13
	v_cndmask_b32_e32 v11, v8, v5, vcc
	v_cndmask_b32_e64 v10, v14, v10, s[0:1]
	v_lshlrev_b32_e32 v13, 16, v11
	v_lshlrev_b32_e32 v14, 16, v10
	v_cmp_lt_f32_e64 s[0:1], v13, v14
	v_cndmask_b32_e64 v13, v10, v11, s[0:1]
	v_cndmask_b32_e64 v0, v12, v0, s[4:5]
	;; [unrolled: 1-line block ×3, first 2 shown]
	v_cndmask_b32_e32 v5, v5, v8, vcc
	v_lshlrev_b32_e32 v8, 16, v13
	v_lshlrev_b32_e32 v11, 16, v0
	v_cmp_lt_f32_e32 vcc, v8, v11
	v_lshlrev_b32_e32 v11, 16, v5
	v_lshlrev_b32_e32 v12, 16, v10
	v_cndmask_b32_e64 v1, v17, v1, s[6:7]
	v_cndmask_b32_e32 v8, v13, v0, vcc
	v_cndmask_b32_e32 v0, v0, v13, vcc
	v_cmp_lt_f32_e32 vcc, v11, v12
	v_cndmask_b32_e32 v11, v10, v5, vcc
	v_cndmask_b32_e32 v5, v5, v10, vcc
	v_lshlrev_b32_e32 v10, 16, v1
	v_cmp_lt_f32_e32 vcc, v7, v10
	v_cndmask_b32_e32 v7, v2, v1, vcc
	v_cndmask_b32_e32 v10, v1, v2, vcc
	v_lshlrev_b32_e32 v1, 16, v0
	v_cmp_gt_f32_e32 vcc, v6, v1
	v_lshlrev_b32_e32 v2, 16, v11
	v_lshlrev_b32_e32 v6, 16, v8
	v_cndmask_b32_e32 v1, v0, v9, vcc
	v_cndmask_b32_e32 v0, v9, v0, vcc
	v_cmp_lt_f32_e32 vcc, v2, v6
	v_cndmask_b32_e32 v2, v11, v8, vcc
	v_cndmask_b32_e32 v6, v8, v11, vcc
	s_mov_b32 s0, 0x5040100
	v_perm_b32 v1, v1, v0, s0
	v_perm_b32 v2, v2, v6, s0
	;; [unrolled: 1-line block ×3, first 2 shown]
	global_store_short v[3:4], v5, off offset:12
	global_store_dwordx3 v[3:4], v[0:2], off
	s_endpgm
	.section	.rodata,"a",@progbits
	.p2align	6, 0x0
	.amdhsa_kernel _Z9sort_keysILj256ELj7E12hip_bfloat16N10test_utils4lessEEvPT1_T2_
		.amdhsa_group_segment_fixed_size 0
		.amdhsa_private_segment_fixed_size 0
		.amdhsa_kernarg_size 12
		.amdhsa_user_sgpr_count 6
		.amdhsa_user_sgpr_private_segment_buffer 1
		.amdhsa_user_sgpr_dispatch_ptr 0
		.amdhsa_user_sgpr_queue_ptr 0
		.amdhsa_user_sgpr_kernarg_segment_ptr 1
		.amdhsa_user_sgpr_dispatch_id 0
		.amdhsa_user_sgpr_flat_scratch_init 0
		.amdhsa_user_sgpr_private_segment_size 0
		.amdhsa_uses_dynamic_stack 0
		.amdhsa_system_sgpr_private_segment_wavefront_offset 0
		.amdhsa_system_sgpr_workgroup_id_x 1
		.amdhsa_system_sgpr_workgroup_id_y 0
		.amdhsa_system_sgpr_workgroup_id_z 0
		.amdhsa_system_sgpr_workgroup_info 0
		.amdhsa_system_vgpr_workitem_id 0
		.amdhsa_next_free_vgpr 18
		.amdhsa_next_free_sgpr 12
		.amdhsa_reserve_vcc 1
		.amdhsa_reserve_flat_scratch 0
		.amdhsa_float_round_mode_32 0
		.amdhsa_float_round_mode_16_64 0
		.amdhsa_float_denorm_mode_32 3
		.amdhsa_float_denorm_mode_16_64 3
		.amdhsa_dx10_clamp 1
		.amdhsa_ieee_mode 1
		.amdhsa_fp16_overflow 0
		.amdhsa_exception_fp_ieee_invalid_op 0
		.amdhsa_exception_fp_denorm_src 0
		.amdhsa_exception_fp_ieee_div_zero 0
		.amdhsa_exception_fp_ieee_overflow 0
		.amdhsa_exception_fp_ieee_underflow 0
		.amdhsa_exception_fp_ieee_inexact 0
		.amdhsa_exception_int_div_zero 0
	.end_amdhsa_kernel
	.section	.text._Z9sort_keysILj256ELj7E12hip_bfloat16N10test_utils4lessEEvPT1_T2_,"axG",@progbits,_Z9sort_keysILj256ELj7E12hip_bfloat16N10test_utils4lessEEvPT1_T2_,comdat
.Lfunc_end0:
	.size	_Z9sort_keysILj256ELj7E12hip_bfloat16N10test_utils4lessEEvPT1_T2_, .Lfunc_end0-_Z9sort_keysILj256ELj7E12hip_bfloat16N10test_utils4lessEEvPT1_T2_
                                        ; -- End function
	.set _Z9sort_keysILj256ELj7E12hip_bfloat16N10test_utils4lessEEvPT1_T2_.num_vgpr, 18
	.set _Z9sort_keysILj256ELj7E12hip_bfloat16N10test_utils4lessEEvPT1_T2_.num_agpr, 0
	.set _Z9sort_keysILj256ELj7E12hip_bfloat16N10test_utils4lessEEvPT1_T2_.numbered_sgpr, 12
	.set _Z9sort_keysILj256ELj7E12hip_bfloat16N10test_utils4lessEEvPT1_T2_.num_named_barrier, 0
	.set _Z9sort_keysILj256ELj7E12hip_bfloat16N10test_utils4lessEEvPT1_T2_.private_seg_size, 0
	.set _Z9sort_keysILj256ELj7E12hip_bfloat16N10test_utils4lessEEvPT1_T2_.uses_vcc, 1
	.set _Z9sort_keysILj256ELj7E12hip_bfloat16N10test_utils4lessEEvPT1_T2_.uses_flat_scratch, 0
	.set _Z9sort_keysILj256ELj7E12hip_bfloat16N10test_utils4lessEEvPT1_T2_.has_dyn_sized_stack, 0
	.set _Z9sort_keysILj256ELj7E12hip_bfloat16N10test_utils4lessEEvPT1_T2_.has_recursion, 0
	.set _Z9sort_keysILj256ELj7E12hip_bfloat16N10test_utils4lessEEvPT1_T2_.has_indirect_call, 0
	.section	.AMDGPU.csdata,"",@progbits
; Kernel info:
; codeLenInByte = 748
; TotalNumSgprs: 16
; NumVgprs: 18
; ScratchSize: 0
; MemoryBound: 0
; FloatMode: 240
; IeeeMode: 1
; LDSByteSize: 0 bytes/workgroup (compile time only)
; SGPRBlocks: 1
; VGPRBlocks: 4
; NumSGPRsForWavesPerEU: 16
; NumVGPRsForWavesPerEU: 18
; Occupancy: 10
; WaveLimiterHint : 0
; COMPUTE_PGM_RSRC2:SCRATCH_EN: 0
; COMPUTE_PGM_RSRC2:USER_SGPR: 6
; COMPUTE_PGM_RSRC2:TRAP_HANDLER: 0
; COMPUTE_PGM_RSRC2:TGID_X_EN: 1
; COMPUTE_PGM_RSRC2:TGID_Y_EN: 0
; COMPUTE_PGM_RSRC2:TGID_Z_EN: 0
; COMPUTE_PGM_RSRC2:TIDIG_COMP_CNT: 0
	.section	.text._Z9sort_keysILj256ELj6E6__halfN10test_utils4lessEEvPT1_T2_,"axG",@progbits,_Z9sort_keysILj256ELj6E6__halfN10test_utils4lessEEvPT1_T2_,comdat
	.protected	_Z9sort_keysILj256ELj6E6__halfN10test_utils4lessEEvPT1_T2_ ; -- Begin function _Z9sort_keysILj256ELj6E6__halfN10test_utils4lessEEvPT1_T2_
	.globl	_Z9sort_keysILj256ELj6E6__halfN10test_utils4lessEEvPT1_T2_
	.p2align	8
	.type	_Z9sort_keysILj256ELj6E6__halfN10test_utils4lessEEvPT1_T2_,@function
_Z9sort_keysILj256ELj6E6__halfN10test_utils4lessEEvPT1_T2_: ; @_Z9sort_keysILj256ELj6E6__halfN10test_utils4lessEEvPT1_T2_
; %bb.0:
	s_load_dwordx2 s[0:1], s[4:5], 0x0
	s_mul_i32 s2, s6, 0x600
	s_mov_b32 s3, 0
	s_lshl_b64 s[2:3], s[2:3], 1
	v_mul_u32_u24_e32 v0, 6, v0
	s_waitcnt lgkmcnt(0)
	s_add_u32 s0, s0, s2
	s_addc_u32 s1, s1, s3
	v_lshlrev_b32_e32 v3, 1, v0
	global_load_dwordx3 v[0:2], v3, s[0:1]
	v_mov_b32_e32 v4, s1
	v_add_co_u32_e32 v3, vcc, s0, v3
	v_addc_co_u32_e32 v4, vcc, 0, v4, vcc
	s_waitcnt vmcnt(0)
	v_lshrrev_b32_e32 v9, 16, v1
	v_lshrrev_b32_e32 v10, 16, v0
	v_cmp_gt_f16_e32 vcc, v0, v10
	v_cmp_gt_f16_e64 s[0:1], v1, v9
	v_cndmask_b32_e32 v8, v10, v0, vcc
	v_cndmask_b32_e64 v7, v1, v9, s[0:1]
	v_cmp_ngt_f16_e64 s[2:3], v8, v7
	v_mov_b32_e32 v6, v7
	v_mov_b32_e32 v5, v8
	;; [unrolled: 1-line block ×3, first 2 shown]
	s_and_saveexec_b64 s[4:5], s[2:3]
; %bb.1:
	v_cndmask_b32_e32 v6, v10, v0, vcc
	v_cndmask_b32_e64 v5, v1, v9, s[0:1]
	v_mov_b32_e32 v12, v8
	v_mov_b32_e32 v8, v7
	;; [unrolled: 1-line block ×3, first 2 shown]
; %bb.2:
	s_or_b64 exec, exec, s[4:5]
	v_lshrrev_b32_e32 v11, 16, v2
	v_cndmask_b32_e32 v10, v0, v10, vcc
	v_cmp_gt_f16_e32 vcc, v2, v11
	v_cndmask_b32_e64 v9, v9, v1, s[0:1]
	v_cndmask_b32_e32 v14, v2, v11, vcc
	v_cmp_gt_f16_e64 s[2:3], v9, v14
	v_cndmask_b32_e64 v1, v9, v14, s[2:3]
	v_cmp_gt_f16_e64 s[4:5], v10, v6
	v_cmp_gt_f16_e64 s[0:1], v5, v1
	v_cndmask_b32_e64 v15, v12, v10, s[4:5]
	v_cndmask_b32_e64 v12, v8, v1, s[0:1]
	v_cmp_ngt_f16_e64 s[6:7], v15, v12
	v_mov_b32_e32 v13, v12
	v_mov_b32_e32 v0, v15
	;; [unrolled: 1-line block ×3, first 2 shown]
	s_and_saveexec_b64 s[8:9], s[6:7]
; %bb.3:
	v_cndmask_b32_e64 v8, v5, v1, s[0:1]
	v_cndmask_b32_e64 v13, v7, v10, s[4:5]
	v_mov_b32_e32 v0, v12
	v_mov_b32_e32 v12, v15
; %bb.4:
	s_or_b64 exec, exec, s[8:9]
	v_cndmask_b32_e64 v7, v14, v9, s[2:3]
	v_cndmask_b32_e32 v2, v11, v2, vcc
	v_cmp_gt_f16_e32 vcc, v7, v2
	v_cndmask_b32_e32 v9, v2, v7, vcc
	v_cndmask_b32_e32 v2, v7, v2, vcc
	v_cndmask_b32_e64 v1, v1, v5, s[0:1]
	v_cndmask_b32_e64 v6, v10, v6, s[4:5]
	v_cmp_gt_f16_e32 vcc, v1, v2
	v_cndmask_b32_e32 v5, v2, v1, vcc
	v_cndmask_b32_e32 v1, v1, v2, vcc
	v_cmp_gt_f16_e32 vcc, v6, v13
	v_cndmask_b32_e32 v2, v12, v6, vcc
	v_cndmask_b32_e32 v6, v6, v13, vcc
	v_cmp_gt_f16_e32 vcc, v8, v1
	v_cmp_gt_f16_e64 s[0:1], v5, v9
	v_cndmask_b32_e32 v0, v0, v1, vcc
	v_cndmask_b32_e32 v7, v1, v8, vcc
	;; [unrolled: 1-line block ×3, first 2 shown]
	v_cndmask_b32_e64 v10, v5, v9, s[0:1]
	v_cmp_gt_f16_e32 vcc, v2, v0
	v_cndmask_b32_e32 v1, v8, v2, vcc
	v_cndmask_b32_e32 v0, v2, v0, vcc
	v_cmp_gt_f16_e32 vcc, v7, v10
	v_cndmask_b32_e64 v5, v9, v5, s[0:1]
	v_cndmask_b32_e32 v2, v10, v7, vcc
	v_cndmask_b32_e32 v7, v7, v10, vcc
	s_mov_b32 s0, 0x5040100
	v_perm_b32 v1, v7, v1, s0
	v_perm_b32 v2, v5, v2, s0
	;; [unrolled: 1-line block ×3, first 2 shown]
	global_store_dwordx3 v[3:4], v[0:2], off
	s_endpgm
	.section	.rodata,"a",@progbits
	.p2align	6, 0x0
	.amdhsa_kernel _Z9sort_keysILj256ELj6E6__halfN10test_utils4lessEEvPT1_T2_
		.amdhsa_group_segment_fixed_size 0
		.amdhsa_private_segment_fixed_size 0
		.amdhsa_kernarg_size 12
		.amdhsa_user_sgpr_count 6
		.amdhsa_user_sgpr_private_segment_buffer 1
		.amdhsa_user_sgpr_dispatch_ptr 0
		.amdhsa_user_sgpr_queue_ptr 0
		.amdhsa_user_sgpr_kernarg_segment_ptr 1
		.amdhsa_user_sgpr_dispatch_id 0
		.amdhsa_user_sgpr_flat_scratch_init 0
		.amdhsa_user_sgpr_private_segment_size 0
		.amdhsa_uses_dynamic_stack 0
		.amdhsa_system_sgpr_private_segment_wavefront_offset 0
		.amdhsa_system_sgpr_workgroup_id_x 1
		.amdhsa_system_sgpr_workgroup_id_y 0
		.amdhsa_system_sgpr_workgroup_id_z 0
		.amdhsa_system_sgpr_workgroup_info 0
		.amdhsa_system_vgpr_workitem_id 0
		.amdhsa_next_free_vgpr 16
		.amdhsa_next_free_sgpr 10
		.amdhsa_reserve_vcc 1
		.amdhsa_reserve_flat_scratch 0
		.amdhsa_float_round_mode_32 0
		.amdhsa_float_round_mode_16_64 0
		.amdhsa_float_denorm_mode_32 3
		.amdhsa_float_denorm_mode_16_64 3
		.amdhsa_dx10_clamp 1
		.amdhsa_ieee_mode 1
		.amdhsa_fp16_overflow 0
		.amdhsa_exception_fp_ieee_invalid_op 0
		.amdhsa_exception_fp_denorm_src 0
		.amdhsa_exception_fp_ieee_div_zero 0
		.amdhsa_exception_fp_ieee_overflow 0
		.amdhsa_exception_fp_ieee_underflow 0
		.amdhsa_exception_fp_ieee_inexact 0
		.amdhsa_exception_int_div_zero 0
	.end_amdhsa_kernel
	.section	.text._Z9sort_keysILj256ELj6E6__halfN10test_utils4lessEEvPT1_T2_,"axG",@progbits,_Z9sort_keysILj256ELj6E6__halfN10test_utils4lessEEvPT1_T2_,comdat
.Lfunc_end1:
	.size	_Z9sort_keysILj256ELj6E6__halfN10test_utils4lessEEvPT1_T2_, .Lfunc_end1-_Z9sort_keysILj256ELj6E6__halfN10test_utils4lessEEvPT1_T2_
                                        ; -- End function
	.set _Z9sort_keysILj256ELj6E6__halfN10test_utils4lessEEvPT1_T2_.num_vgpr, 16
	.set _Z9sort_keysILj256ELj6E6__halfN10test_utils4lessEEvPT1_T2_.num_agpr, 0
	.set _Z9sort_keysILj256ELj6E6__halfN10test_utils4lessEEvPT1_T2_.numbered_sgpr, 10
	.set _Z9sort_keysILj256ELj6E6__halfN10test_utils4lessEEvPT1_T2_.num_named_barrier, 0
	.set _Z9sort_keysILj256ELj6E6__halfN10test_utils4lessEEvPT1_T2_.private_seg_size, 0
	.set _Z9sort_keysILj256ELj6E6__halfN10test_utils4lessEEvPT1_T2_.uses_vcc, 1
	.set _Z9sort_keysILj256ELj6E6__halfN10test_utils4lessEEvPT1_T2_.uses_flat_scratch, 0
	.set _Z9sort_keysILj256ELj6E6__halfN10test_utils4lessEEvPT1_T2_.has_dyn_sized_stack, 0
	.set _Z9sort_keysILj256ELj6E6__halfN10test_utils4lessEEvPT1_T2_.has_recursion, 0
	.set _Z9sort_keysILj256ELj6E6__halfN10test_utils4lessEEvPT1_T2_.has_indirect_call, 0
	.section	.AMDGPU.csdata,"",@progbits
; Kernel info:
; codeLenInByte = 448
; TotalNumSgprs: 14
; NumVgprs: 16
; ScratchSize: 0
; MemoryBound: 0
; FloatMode: 240
; IeeeMode: 1
; LDSByteSize: 0 bytes/workgroup (compile time only)
; SGPRBlocks: 1
; VGPRBlocks: 3
; NumSGPRsForWavesPerEU: 14
; NumVGPRsForWavesPerEU: 16
; Occupancy: 10
; WaveLimiterHint : 0
; COMPUTE_PGM_RSRC2:SCRATCH_EN: 0
; COMPUTE_PGM_RSRC2:USER_SGPR: 6
; COMPUTE_PGM_RSRC2:TRAP_HANDLER: 0
; COMPUTE_PGM_RSRC2:TGID_X_EN: 1
; COMPUTE_PGM_RSRC2:TGID_Y_EN: 0
; COMPUTE_PGM_RSRC2:TGID_Z_EN: 0
; COMPUTE_PGM_RSRC2:TIDIG_COMP_CNT: 0
	.section	.text._Z9sort_keysILj256ELj4EN10test_utils16custom_test_typeIiEENS0_4lessEEvPT1_T2_,"axG",@progbits,_Z9sort_keysILj256ELj4EN10test_utils16custom_test_typeIiEENS0_4lessEEvPT1_T2_,comdat
	.protected	_Z9sort_keysILj256ELj4EN10test_utils16custom_test_typeIiEENS0_4lessEEvPT1_T2_ ; -- Begin function _Z9sort_keysILj256ELj4EN10test_utils16custom_test_typeIiEENS0_4lessEEvPT1_T2_
	.globl	_Z9sort_keysILj256ELj4EN10test_utils16custom_test_typeIiEENS0_4lessEEvPT1_T2_
	.p2align	8
	.type	_Z9sort_keysILj256ELj4EN10test_utils16custom_test_typeIiEENS0_4lessEEvPT1_T2_,@function
_Z9sort_keysILj256ELj4EN10test_utils16custom_test_typeIiEENS0_4lessEEvPT1_T2_: ; @_Z9sort_keysILj256ELj4EN10test_utils16custom_test_typeIiEENS0_4lessEEvPT1_T2_
; %bb.0:
	s_load_dwordx2 s[0:1], s[4:5], 0x0
	s_lshl_b32 s2, s6, 10
	s_mov_b32 s3, 0
	s_lshl_b64 s[2:3], s[2:3], 3
	v_lshlrev_b32_e32 v18, 5, v0
	s_waitcnt lgkmcnt(0)
	s_add_u32 s4, s0, s2
	s_addc_u32 s5, s1, s3
	global_load_dwordx4 v[8:11], v18, s[4:5]
	global_load_dwordx4 v[2:5], v18, s[4:5] offset:16
	s_waitcnt vmcnt(1)
	v_cmp_eq_u32_e64 s[0:1], v10, v8
	v_cmp_lt_i32_e64 s[2:3], v11, v9
	v_cmp_lt_i32_e32 vcc, v10, v8
	v_mov_b32_e32 v13, v11
	s_and_b64 s[0:1], s[0:1], s[2:3]
	v_mov_b32_e32 v0, v8
	v_mov_b32_e32 v1, v9
	;; [unrolled: 1-line block ×4, first 2 shown]
	s_or_b64 s[2:3], vcc, s[0:1]
	v_mov_b32_e32 v14, v10
	s_and_saveexec_b64 s[0:1], s[2:3]
; %bb.1:
	v_mov_b32_e32 v13, v1
	v_mov_b32_e32 v12, v0
	;; [unrolled: 1-line block ×8, first 2 shown]
; %bb.2:
	s_or_b64 exec, exec, s[0:1]
	s_waitcnt vmcnt(0)
	v_cmp_eq_u32_e64 s[0:1], v4, v2
	v_cmp_lt_i32_e64 s[2:3], v5, v3
	v_cmp_lt_i32_e32 vcc, v4, v2
	s_and_b64 s[0:1], s[0:1], s[2:3]
	v_mov_b32_e32 v7, v5
	v_mov_b32_e32 v17, v3
	s_or_b64 s[2:3], vcc, s[0:1]
	v_mov_b32_e32 v6, v4
	v_mov_b32_e32 v16, v2
	;; [unrolled: 1-line block ×4, first 2 shown]
	s_and_saveexec_b64 s[0:1], s[2:3]
; %bb.3:
	v_mov_b32_e32 v7, v3
	v_mov_b32_e32 v17, v5
	;; [unrolled: 1-line block ×8, first 2 shown]
; %bb.4:
	s_or_b64 exec, exec, s[0:1]
	v_cmp_eq_u32_e64 s[0:1], v2, v14
	v_cmp_lt_i32_e64 s[2:3], v3, v15
	v_cmp_lt_i32_e32 vcc, v2, v14
	s_and_b64 s[0:1], s[0:1], s[2:3]
	s_or_b64 s[0:1], vcc, s[0:1]
	s_and_saveexec_b64 s[2:3], s[0:1]
	s_xor_b64 s[0:1], exec, s[2:3]
	s_cbranch_execz .LBB2_6
; %bb.5:
	v_mov_b32_e32 v17, v13
	v_mov_b32_e32 v4, v12
	;; [unrolled: 1-line block ×10, first 2 shown]
.LBB2_6:
	s_or_b64 exec, exec, s[0:1]
	v_cmp_eq_u32_e64 s[0:1], v14, v8
	v_cmp_lt_i32_e64 s[2:3], v15, v9
	v_cmp_lt_i32_e32 vcc, v14, v8
	s_and_b64 s[0:1], s[0:1], s[2:3]
	v_mov_b32_e32 v4, s5
	s_or_b64 s[2:3], vcc, s[0:1]
	s_and_saveexec_b64 s[0:1], s[2:3]
; %bb.7:
	v_mov_b32_e32 v13, v1
	v_mov_b32_e32 v5, v0
	v_mov_b32_e32 v8, v1
	v_mov_b32_e32 v12, v0
	v_mov_b32_e32 v0, v14
	v_mov_b32_e32 v1, v15
	v_mov_b32_e32 v15, v8
	v_mov_b32_e32 v14, v5
; %bb.8:
	s_or_b64 exec, exec, s[0:1]
	v_add_co_u32_e32 v8, vcc, s4, v18
	v_addc_co_u32_e32 v9, vcc, 0, v4, vcc
	v_cmp_ne_u32_e64 s[0:1], v10, v2
	v_cmp_ge_i32_e64 s[2:3], v11, v3
	v_cmp_ge_i32_e32 vcc, v10, v2
	s_or_b64 s[0:1], s[0:1], s[2:3]
	s_and_b64 s[0:1], vcc, s[0:1]
	s_and_saveexec_b64 s[2:3], s[0:1]
	s_xor_b64 s[0:1], exec, s[2:3]
; %bb.9:
	v_mov_b32_e32 v11, v3
	v_mov_b32_e32 v10, v2
; %bb.10:
	s_andn2_saveexec_b64 s[0:1], s[0:1]
; %bb.11:
	v_mov_b32_e32 v6, v16
	v_mov_b32_e32 v7, v17
	;; [unrolled: 1-line block ×6, first 2 shown]
; %bb.12:
	s_or_b64 exec, exec, s[0:1]
	v_cmp_eq_u32_e64 s[0:1], v2, v14
	v_cmp_lt_i32_e64 s[2:3], v3, v15
	v_cmp_lt_i32_e32 vcc, v2, v14
	s_and_b64 s[0:1], s[0:1], s[2:3]
	s_or_b64 vcc, vcc, s[0:1]
	v_cndmask_b32_e32 v3, v13, v11, vcc
	v_cndmask_b32_e32 v2, v12, v10, vcc
	;; [unrolled: 1-line block ×4, first 2 shown]
	global_store_dwordx4 v[8:9], v[0:3], off
	global_store_dwordx4 v[8:9], v[4:7], off offset:16
	s_endpgm
	.section	.rodata,"a",@progbits
	.p2align	6, 0x0
	.amdhsa_kernel _Z9sort_keysILj256ELj4EN10test_utils16custom_test_typeIiEENS0_4lessEEvPT1_T2_
		.amdhsa_group_segment_fixed_size 0
		.amdhsa_private_segment_fixed_size 0
		.amdhsa_kernarg_size 12
		.amdhsa_user_sgpr_count 6
		.amdhsa_user_sgpr_private_segment_buffer 1
		.amdhsa_user_sgpr_dispatch_ptr 0
		.amdhsa_user_sgpr_queue_ptr 0
		.amdhsa_user_sgpr_kernarg_segment_ptr 1
		.amdhsa_user_sgpr_dispatch_id 0
		.amdhsa_user_sgpr_flat_scratch_init 0
		.amdhsa_user_sgpr_private_segment_size 0
		.amdhsa_uses_dynamic_stack 0
		.amdhsa_system_sgpr_private_segment_wavefront_offset 0
		.amdhsa_system_sgpr_workgroup_id_x 1
		.amdhsa_system_sgpr_workgroup_id_y 0
		.amdhsa_system_sgpr_workgroup_id_z 0
		.amdhsa_system_sgpr_workgroup_info 0
		.amdhsa_system_vgpr_workitem_id 0
		.amdhsa_next_free_vgpr 19
		.amdhsa_next_free_sgpr 7
		.amdhsa_reserve_vcc 1
		.amdhsa_reserve_flat_scratch 0
		.amdhsa_float_round_mode_32 0
		.amdhsa_float_round_mode_16_64 0
		.amdhsa_float_denorm_mode_32 3
		.amdhsa_float_denorm_mode_16_64 3
		.amdhsa_dx10_clamp 1
		.amdhsa_ieee_mode 1
		.amdhsa_fp16_overflow 0
		.amdhsa_exception_fp_ieee_invalid_op 0
		.amdhsa_exception_fp_denorm_src 0
		.amdhsa_exception_fp_ieee_div_zero 0
		.amdhsa_exception_fp_ieee_overflow 0
		.amdhsa_exception_fp_ieee_underflow 0
		.amdhsa_exception_fp_ieee_inexact 0
		.amdhsa_exception_int_div_zero 0
	.end_amdhsa_kernel
	.section	.text._Z9sort_keysILj256ELj4EN10test_utils16custom_test_typeIiEENS0_4lessEEvPT1_T2_,"axG",@progbits,_Z9sort_keysILj256ELj4EN10test_utils16custom_test_typeIiEENS0_4lessEEvPT1_T2_,comdat
.Lfunc_end2:
	.size	_Z9sort_keysILj256ELj4EN10test_utils16custom_test_typeIiEENS0_4lessEEvPT1_T2_, .Lfunc_end2-_Z9sort_keysILj256ELj4EN10test_utils16custom_test_typeIiEENS0_4lessEEvPT1_T2_
                                        ; -- End function
	.set _Z9sort_keysILj256ELj4EN10test_utils16custom_test_typeIiEENS0_4lessEEvPT1_T2_.num_vgpr, 19
	.set _Z9sort_keysILj256ELj4EN10test_utils16custom_test_typeIiEENS0_4lessEEvPT1_T2_.num_agpr, 0
	.set _Z9sort_keysILj256ELj4EN10test_utils16custom_test_typeIiEENS0_4lessEEvPT1_T2_.numbered_sgpr, 7
	.set _Z9sort_keysILj256ELj4EN10test_utils16custom_test_typeIiEENS0_4lessEEvPT1_T2_.num_named_barrier, 0
	.set _Z9sort_keysILj256ELj4EN10test_utils16custom_test_typeIiEENS0_4lessEEvPT1_T2_.private_seg_size, 0
	.set _Z9sort_keysILj256ELj4EN10test_utils16custom_test_typeIiEENS0_4lessEEvPT1_T2_.uses_vcc, 1
	.set _Z9sort_keysILj256ELj4EN10test_utils16custom_test_typeIiEENS0_4lessEEvPT1_T2_.uses_flat_scratch, 0
	.set _Z9sort_keysILj256ELj4EN10test_utils16custom_test_typeIiEENS0_4lessEEvPT1_T2_.has_dyn_sized_stack, 0
	.set _Z9sort_keysILj256ELj4EN10test_utils16custom_test_typeIiEENS0_4lessEEvPT1_T2_.has_recursion, 0
	.set _Z9sort_keysILj256ELj4EN10test_utils16custom_test_typeIiEENS0_4lessEEvPT1_T2_.has_indirect_call, 0
	.section	.AMDGPU.csdata,"",@progbits
; Kernel info:
; codeLenInByte = 548
; TotalNumSgprs: 11
; NumVgprs: 19
; ScratchSize: 0
; MemoryBound: 0
; FloatMode: 240
; IeeeMode: 1
; LDSByteSize: 0 bytes/workgroup (compile time only)
; SGPRBlocks: 1
; VGPRBlocks: 4
; NumSGPRsForWavesPerEU: 11
; NumVGPRsForWavesPerEU: 19
; Occupancy: 10
; WaveLimiterHint : 0
; COMPUTE_PGM_RSRC2:SCRATCH_EN: 0
; COMPUTE_PGM_RSRC2:USER_SGPR: 6
; COMPUTE_PGM_RSRC2:TRAP_HANDLER: 0
; COMPUTE_PGM_RSRC2:TGID_X_EN: 1
; COMPUTE_PGM_RSRC2:TGID_Y_EN: 0
; COMPUTE_PGM_RSRC2:TGID_Z_EN: 0
; COMPUTE_PGM_RSRC2:TIDIG_COMP_CNT: 0
	.section	.text._Z9sort_keysILj256ELj11EdN10test_utils4lessEEvPT1_T2_,"axG",@progbits,_Z9sort_keysILj256ELj11EdN10test_utils4lessEEvPT1_T2_,comdat
	.protected	_Z9sort_keysILj256ELj11EdN10test_utils4lessEEvPT1_T2_ ; -- Begin function _Z9sort_keysILj256ELj11EdN10test_utils4lessEEvPT1_T2_
	.globl	_Z9sort_keysILj256ELj11EdN10test_utils4lessEEvPT1_T2_
	.p2align	8
	.type	_Z9sort_keysILj256ELj11EdN10test_utils4lessEEvPT1_T2_,@function
_Z9sort_keysILj256ELj11EdN10test_utils4lessEEvPT1_T2_: ; @_Z9sort_keysILj256ELj11EdN10test_utils4lessEEvPT1_T2_
; %bb.0:
	s_load_dwordx2 s[0:1], s[4:5], 0x0
	s_mul_i32 s2, s6, 0xb00
	s_mov_b32 s3, 0
	s_lshl_b64 s[2:3], s[2:3], 3
	v_mul_u32_u24_e32 v0, 11, v0
	s_waitcnt lgkmcnt(0)
	s_add_u32 s4, s0, s2
	s_addc_u32 s5, s1, s3
	v_lshlrev_b32_e32 v0, 3, v0
	global_load_dwordx4 v[1:4], v0, s[4:5]
	global_load_dwordx4 v[5:8], v0, s[4:5] offset:16
	global_load_dwordx4 v[9:12], v0, s[4:5] offset:32
	;; [unrolled: 1-line block ×3, first 2 shown]
	s_waitcnt vmcnt(3)
	v_cmp_lt_f64_e32 vcc, v[3:4], v[1:2]
	s_waitcnt vmcnt(2)
	v_cmp_lt_f64_e64 s[0:1], v[7:8], v[5:6]
	s_waitcnt vmcnt(1)
	v_cmp_lt_f64_e64 s[2:3], v[11:12], v[9:10]
	v_cndmask_b32_e32 v18, v2, v4, vcc
	v_cndmask_b32_e32 v17, v1, v3, vcc
	v_cndmask_b32_e32 v22, v4, v2, vcc
	v_cndmask_b32_e32 v21, v3, v1, vcc
	s_waitcnt vmcnt(0)
	v_cmp_lt_f64_e32 vcc, v[15:16], v[13:14]
	v_cndmask_b32_e64 v20, v8, v6, s[0:1]
	v_cndmask_b32_e64 v24, v12, v10, s[2:3]
	;; [unrolled: 1-line block ×7, first 2 shown]
	v_cndmask_b32_e32 v8, v16, v14, vcc
	v_cndmask_b32_e64 v9, v9, v11, s[2:3]
	v_cndmask_b32_e32 v7, v15, v13, vcc
	v_cndmask_b32_e32 v12, v14, v16, vcc
	;; [unrolled: 1-line block ×3, first 2 shown]
	global_load_dwordx4 v[1:4], v0, s[4:5] offset:64
	global_load_dwordx2 v[13:14], v0, s[4:5] offset:80
	s_waitcnt vmcnt(1)
	v_cmp_lt_f64_e32 vcc, v[3:4], v[1:2]
	v_cndmask_b32_e32 v16, v4, v2, vcc
	v_cndmask_b32_e32 v15, v3, v1, vcc
	v_cndmask_b32_e32 v2, v2, v4, vcc
	v_cndmask_b32_e32 v1, v1, v3, vcc
	v_cmp_lt_f64_e32 vcc, v[5:6], v[21:22]
	v_cndmask_b32_e32 v4, v6, v22, vcc
	v_cndmask_b32_e32 v3, v5, v21, vcc
	v_cndmask_b32_e32 v6, v22, v6, vcc
	v_cndmask_b32_e32 v5, v21, v5, vcc
	;; [unrolled: 5-line block ×5, first 2 shown]
	s_waitcnt vmcnt(0)
	v_cmp_lt_f64_e32 vcc, v[13:14], v[15:16]
	v_cndmask_b32_e32 v8, v14, v16, vcc
	v_cndmask_b32_e32 v7, v13, v15, vcc
	v_cndmask_b32_e32 v14, v16, v14, vcc
	v_cndmask_b32_e32 v13, v15, v13, vcc
	v_cmp_lt_f64_e32 vcc, v[5:6], v[17:18]
	v_cndmask_b32_e32 v16, v18, v6, vcc
	v_cndmask_b32_e32 v15, v17, v5, vcc
	v_cndmask_b32_e32 v6, v6, v18, vcc
	v_cndmask_b32_e32 v5, v5, v17, vcc
	;; [unrolled: 5-line block ×46, first 2 shown]
	global_store_dwordx4 v0, v[1:4], s[4:5]
	global_store_dwordx4 v0, v[5:8], s[4:5] offset:16
	global_store_dwordx4 v0, v[9:12], s[4:5] offset:32
	;; [unrolled: 1-line block ×4, first 2 shown]
	global_store_dwordx2 v0, v[29:30], s[4:5] offset:80
	s_endpgm
	.section	.rodata,"a",@progbits
	.p2align	6, 0x0
	.amdhsa_kernel _Z9sort_keysILj256ELj11EdN10test_utils4lessEEvPT1_T2_
		.amdhsa_group_segment_fixed_size 0
		.amdhsa_private_segment_fixed_size 0
		.amdhsa_kernarg_size 12
		.amdhsa_user_sgpr_count 6
		.amdhsa_user_sgpr_private_segment_buffer 1
		.amdhsa_user_sgpr_dispatch_ptr 0
		.amdhsa_user_sgpr_queue_ptr 0
		.amdhsa_user_sgpr_kernarg_segment_ptr 1
		.amdhsa_user_sgpr_dispatch_id 0
		.amdhsa_user_sgpr_flat_scratch_init 0
		.amdhsa_user_sgpr_private_segment_size 0
		.amdhsa_uses_dynamic_stack 0
		.amdhsa_system_sgpr_private_segment_wavefront_offset 0
		.amdhsa_system_sgpr_workgroup_id_x 1
		.amdhsa_system_sgpr_workgroup_id_y 0
		.amdhsa_system_sgpr_workgroup_id_z 0
		.amdhsa_system_sgpr_workgroup_info 0
		.amdhsa_system_vgpr_workitem_id 0
		.amdhsa_next_free_vgpr 31
		.amdhsa_next_free_sgpr 7
		.amdhsa_reserve_vcc 1
		.amdhsa_reserve_flat_scratch 0
		.amdhsa_float_round_mode_32 0
		.amdhsa_float_round_mode_16_64 0
		.amdhsa_float_denorm_mode_32 3
		.amdhsa_float_denorm_mode_16_64 3
		.amdhsa_dx10_clamp 1
		.amdhsa_ieee_mode 1
		.amdhsa_fp16_overflow 0
		.amdhsa_exception_fp_ieee_invalid_op 0
		.amdhsa_exception_fp_denorm_src 0
		.amdhsa_exception_fp_ieee_div_zero 0
		.amdhsa_exception_fp_ieee_overflow 0
		.amdhsa_exception_fp_ieee_underflow 0
		.amdhsa_exception_fp_ieee_inexact 0
		.amdhsa_exception_int_div_zero 0
	.end_amdhsa_kernel
	.section	.text._Z9sort_keysILj256ELj11EdN10test_utils4lessEEvPT1_T2_,"axG",@progbits,_Z9sort_keysILj256ELj11EdN10test_utils4lessEEvPT1_T2_,comdat
.Lfunc_end3:
	.size	_Z9sort_keysILj256ELj11EdN10test_utils4lessEEvPT1_T2_, .Lfunc_end3-_Z9sort_keysILj256ELj11EdN10test_utils4lessEEvPT1_T2_
                                        ; -- End function
	.set _Z9sort_keysILj256ELj11EdN10test_utils4lessEEvPT1_T2_.num_vgpr, 31
	.set _Z9sort_keysILj256ELj11EdN10test_utils4lessEEvPT1_T2_.num_agpr, 0
	.set _Z9sort_keysILj256ELj11EdN10test_utils4lessEEvPT1_T2_.numbered_sgpr, 7
	.set _Z9sort_keysILj256ELj11EdN10test_utils4lessEEvPT1_T2_.num_named_barrier, 0
	.set _Z9sort_keysILj256ELj11EdN10test_utils4lessEEvPT1_T2_.private_seg_size, 0
	.set _Z9sort_keysILj256ELj11EdN10test_utils4lessEEvPT1_T2_.uses_vcc, 1
	.set _Z9sort_keysILj256ELj11EdN10test_utils4lessEEvPT1_T2_.uses_flat_scratch, 0
	.set _Z9sort_keysILj256ELj11EdN10test_utils4lessEEvPT1_T2_.has_dyn_sized_stack, 0
	.set _Z9sort_keysILj256ELj11EdN10test_utils4lessEEvPT1_T2_.has_recursion, 0
	.set _Z9sort_keysILj256ELj11EdN10test_utils4lessEEvPT1_T2_.has_indirect_call, 0
	.section	.AMDGPU.csdata,"",@progbits
; Kernel info:
; codeLenInByte = 1308
; TotalNumSgprs: 11
; NumVgprs: 31
; ScratchSize: 0
; MemoryBound: 0
; FloatMode: 240
; IeeeMode: 1
; LDSByteSize: 0 bytes/workgroup (compile time only)
; SGPRBlocks: 1
; VGPRBlocks: 7
; NumSGPRsForWavesPerEU: 11
; NumVGPRsForWavesPerEU: 31
; Occupancy: 8
; WaveLimiterHint : 0
; COMPUTE_PGM_RSRC2:SCRATCH_EN: 0
; COMPUTE_PGM_RSRC2:USER_SGPR: 6
; COMPUTE_PGM_RSRC2:TRAP_HANDLER: 0
; COMPUTE_PGM_RSRC2:TGID_X_EN: 1
; COMPUTE_PGM_RSRC2:TGID_Y_EN: 0
; COMPUTE_PGM_RSRC2:TGID_Z_EN: 0
; COMPUTE_PGM_RSRC2:TIDIG_COMP_CNT: 0
	.section	.text._Z9sort_keysILj256ELj10EhN10test_utils4lessEEvPT1_T2_,"axG",@progbits,_Z9sort_keysILj256ELj10EhN10test_utils4lessEEvPT1_T2_,comdat
	.protected	_Z9sort_keysILj256ELj10EhN10test_utils4lessEEvPT1_T2_ ; -- Begin function _Z9sort_keysILj256ELj10EhN10test_utils4lessEEvPT1_T2_
	.globl	_Z9sort_keysILj256ELj10EhN10test_utils4lessEEvPT1_T2_
	.p2align	8
	.type	_Z9sort_keysILj256ELj10EhN10test_utils4lessEEvPT1_T2_,@function
_Z9sort_keysILj256ELj10EhN10test_utils4lessEEvPT1_T2_: ; @_Z9sort_keysILj256ELj10EhN10test_utils4lessEEvPT1_T2_
; %bb.0:
	s_load_dwordx2 s[0:1], s[4:5], 0x0
	s_mulk_i32 s6, 0xa00
	v_mul_u32_u24_e32 v2, 10, v0
	s_mov_b32 s10, 0x7060405
	s_movk_i32 s4, 0xff
	s_waitcnt lgkmcnt(0)
	s_add_u32 s2, s0, s6
	s_addc_u32 s3, s1, 0
	global_load_dwordx2 v[0:1], v2, s[2:3]
	global_load_ushort v3, v2, s[2:3] offset:8
	s_mov_b32 s9, 0x6070504
	s_mov_b32 s6, 0xc0c0001
	s_mov_b32 s5, 0xffff
	s_movk_i32 s7, 0xff00
	s_mov_b32 s8, 0x3020107
	s_mov_b32 s11, 0x7050604
	;; [unrolled: 1-line block ×3, first 2 shown]
	s_waitcnt vmcnt(1)
	v_lshrrev_b32_e32 v11, 8, v1
	v_lshrrev_b32_e32 v4, 24, v0
	v_lshlrev_b16_e32 v6, 8, v0
	v_lshrrev_b32_e32 v7, 8, v0
	v_perm_b32 v10, v1, v1, s10
	v_cmp_lt_u16_sdwa vcc, v11, v1 src0_sel:BYTE_0 src1_sel:BYTE_0
	v_and_b32_sdwa v5, v0, s4 dst_sel:DWORD dst_unused:UNUSED_PAD src0_sel:WORD_1 src1_sel:DWORD
	s_waitcnt vmcnt(0)
	v_lshlrev_b16_e32 v8, 8, v3
	v_lshrrev_b32_e32 v9, 8, v3
	v_lshlrev_b16_e32 v4, 8, v4
	v_or_b32_sdwa v6, v7, v6 dst_sel:DWORD dst_unused:UNUSED_PAD src0_sel:BYTE_0 src1_sel:DWORD
	v_lshlrev_b16_e32 v7, 8, v7
	v_cndmask_b32_e32 v1, v1, v10, vcc
	v_or_b32_sdwa v8, v9, v8 dst_sel:DWORD dst_unused:UNUSED_PAD src0_sel:BYTE_0 src1_sel:DWORD
	v_lshlrev_b16_e32 v9, 8, v9
	v_or_b32_e32 v4, v5, v4
	v_or_b32_sdwa v0, v0, v7 dst_sel:DWORD dst_unused:UNUSED_PAD src0_sel:BYTE_0 src1_sel:DWORD
	v_and_b32_e32 v5, 0xffff, v6
	v_and_b32_sdwa v6, v1, s4 dst_sel:DWORD dst_unused:UNUSED_PAD src0_sel:WORD_1 src1_sel:DWORD
	v_or_b32_sdwa v3, v3, v9 dst_sel:DWORD dst_unused:UNUSED_PAD src0_sel:BYTE_0 src1_sel:DWORD
	v_perm_b32 v7, v1, v1, s9
	v_lshrrev_b32_e32 v9, 8, v9
	v_and_b32_e32 v11, 0xffff, v0
	v_cmp_lt_u16_sdwa vcc, v1, v6 src0_sel:BYTE_3 src1_sel:DWORD
	v_and_b32_e32 v8, 0xffff, v8
	v_cndmask_b32_e32 v1, v1, v7, vcc
	v_and_b32_e32 v6, 0xffff, v3
	v_lshrrev_b32_e32 v7, 8, v11
	v_cmp_lt_u16_sdwa vcc, v9, v3 src0_sel:DWORD src1_sel:BYTE_0
	v_cndmask_b32_e32 v3, v6, v8, vcc
	v_cmp_lt_u16_sdwa vcc, v7, v0 src0_sel:DWORD src1_sel:BYTE_0
	v_lshlrev_b32_e32 v10, 16, v4
	v_perm_b32 v12, 0, v4, s6
	v_cndmask_b32_e32 v5, v11, v5, vcc
	v_lshlrev_b32_e32 v12, 16, v12
	v_or_b32_e32 v5, v5, v10
	v_and_or_b32 v12, v5, s5, v12
	v_cmp_lt_u16_sdwa vcc, v10, v4 src0_sel:BYTE_3 src1_sel:BYTE_0
	v_min_u16_sdwa v13, v10, v4 dst_sel:DWORD dst_unused:UNUSED_PAD src0_sel:BYTE_3 src1_sel:BYTE_0
	v_cndmask_b32_e32 v4, v5, v12, vcc
	v_min_u16_sdwa v8, v7, v0 dst_sel:DWORD dst_unused:UNUSED_PAD src0_sel:DWORD src1_sel:BYTE_0
	v_max_u16_sdwa v0, v7, v0 dst_sel:DWORD dst_unused:UNUSED_PAD src0_sel:DWORD src1_sel:BYTE_0
	v_lshlrev_b16_e32 v7, 8, v13
	v_and_b32_sdwa v10, v4, s7 dst_sel:DWORD dst_unused:UNUSED_PAD src0_sel:WORD_1 src1_sel:DWORD
	v_or_b32_sdwa v7, v4, v7 dst_sel:DWORD dst_unused:UNUSED_PAD src0_sel:BYTE_0 src1_sel:DWORD
	v_or_b32_sdwa v10, v0, v10 dst_sel:WORD_1 dst_unused:UNUSED_PAD src0_sel:DWORD src1_sel:DWORD
	v_or_b32_sdwa v7, v7, v10 dst_sel:DWORD dst_unused:UNUSED_PAD src0_sel:WORD_0 src1_sel:DWORD
	v_cmp_lt_u16_e32 vcc, v13, v0
	v_max_u16_e32 v14, v13, v0
	v_min_u16_e32 v15, v13, v0
	v_cndmask_b32_e32 v0, v4, v7, vcc
	v_lshlrev_b16_e32 v6, 8, v1
	v_and_b32_sdwa v7, v0, s4 dst_sel:DWORD dst_unused:UNUSED_PAD src0_sel:WORD_1 src1_sel:DWORD
	v_perm_b32 v4, v0, v1, s8
	v_or_b32_sdwa v6, v7, v6 dst_sel:WORD_1 dst_unused:UNUSED_PAD src0_sel:DWORD src1_sel:DWORD
	v_cmp_lt_u16_sdwa vcc, v1, v0 src0_sel:BYTE_0 src1_sel:BYTE_3
	v_and_or_b32 v6, v0, s5, v6
	v_cndmask_b32_e32 v1, v1, v4, vcc
	v_cndmask_b32_e32 v0, v0, v6, vcc
	v_and_b32_sdwa v4, v1, s4 dst_sel:DWORD dst_unused:UNUSED_PAD src0_sel:WORD_1 src1_sel:DWORD
	v_lshrrev_b32_e32 v6, 8, v1
	v_lshlrev_b16_e32 v16, 8, v8
	v_perm_b32 v7, v1, v1, s11
	v_cmp_lt_u16_sdwa vcc, v4, v6 src0_sel:DWORD src1_sel:BYTE_0
	v_or_b32_e32 v16, v15, v16
	v_cndmask_b32_e32 v1, v1, v7, vcc
	v_lshlrev_b16_e32 v11, 8, v3
	v_and_b32_e32 v5, 0xffff, v16
	v_and_b32_sdwa v6, v1, s4 dst_sel:DWORD dst_unused:UNUSED_PAD src0_sel:WORD_1 src1_sel:DWORD
	v_and_b32_e32 v9, 0xffffff00, v3
	v_and_or_b32 v5, v0, s12, v5
	v_cmp_lt_u16_e32 vcc, v13, v8
	v_or_b32_sdwa v6, v6, v11 dst_sel:WORD_1 dst_unused:UNUSED_PAD src0_sel:DWORD src1_sel:DWORD
	v_cndmask_b32_e32 v0, v0, v5, vcc
	v_cndmask_b32_e32 v4, v8, v15, vcc
	;; [unrolled: 1-line block ×3, first 2 shown]
	v_or_b32_sdwa v7, v1, v9 dst_sel:DWORD dst_unused:UNUSED_PAD src0_sel:BYTE_3 src1_sel:DWORD
	v_and_or_b32 v6, v1, s5, v6
	v_cmp_lt_u16_sdwa vcc, v3, v1 src0_sel:BYTE_0 src1_sel:BYTE_3
	v_and_b32_e32 v7, 0xffff, v7
	v_cndmask_b32_e32 v1, v1, v6, vcc
	v_cndmask_b32_e32 v3, v3, v7, vcc
	v_lshrrev_b32_e32 v7, 8, v1
	v_perm_b32 v6, v1, v1, s10
	v_cmp_lt_u16_sdwa vcc, v7, v1 src0_sel:BYTE_0 src1_sel:BYTE_0
	v_cndmask_b32_e32 v1, v1, v6, vcc
	v_lshlrev_b16_e32 v17, 8, v14
	v_and_b32_sdwa v6, v1, s4 dst_sel:DWORD dst_unused:UNUSED_PAD src0_sel:WORD_1 src1_sel:DWORD
	v_or_b32_sdwa v8, v0, v17 dst_sel:WORD_1 dst_unused:UNUSED_PAD src0_sel:BYTE_3 src1_sel:DWORD
	v_perm_b32 v7, v1, v1, s9
	v_cmp_lt_u16_sdwa vcc, v1, v6 src0_sel:BYTE_3 src1_sel:DWORD
	v_and_or_b32 v8, v0, s5, v8
	v_cmp_lt_u16_sdwa s[0:1], v0, v14 src0_sel:BYTE_3 src1_sel:DWORD
	v_cndmask_b32_e32 v1, v1, v7, vcc
	v_lshrrev_b32_e32 v7, 8, v3
	v_min_u16_sdwa v9, v0, v14 dst_sel:DWORD dst_unused:UNUSED_PAD src0_sel:BYTE_3 src1_sel:DWORD
	v_cndmask_b32_e64 v0, v0, v8, s[0:1]
	v_perm_b32 v8, 0, v3, s6
	v_cmp_lt_u16_sdwa vcc, v7, v3 src0_sel:BYTE_0 src1_sel:BYTE_0
	v_and_b32_sdwa v6, v0, s7 dst_sel:DWORD dst_unused:UNUSED_PAD src0_sel:WORD_1 src1_sel:DWORD
	v_cndmask_b32_e32 v3, v3, v8, vcc
	v_lshlrev_b16_e32 v8, 8, v9
	v_or_b32_sdwa v6, v5, v6 dst_sel:WORD_1 dst_unused:UNUSED_PAD src0_sel:DWORD src1_sel:DWORD
	v_or_b32_sdwa v8, v0, v8 dst_sel:DWORD dst_unused:UNUSED_PAD src0_sel:BYTE_0 src1_sel:DWORD
	v_or_b32_sdwa v6, v8, v6 dst_sel:DWORD dst_unused:UNUSED_PAD src0_sel:WORD_0 src1_sel:DWORD
	v_cmp_lt_u16_e32 vcc, v9, v5
	v_cndmask_b32_e32 v0, v0, v6, vcc
	v_perm_b32 v6, v0, v1, s8
	v_cmp_lt_u16_sdwa vcc, v1, v0 src0_sel:BYTE_0 src1_sel:BYTE_3
	v_cndmask_b32_e32 v6, v1, v6, vcc
	v_and_b32_sdwa v8, v6, s4 dst_sel:DWORD dst_unused:UNUSED_PAD src0_sel:WORD_1 src1_sel:DWORD
	v_lshrrev_b32_e32 v10, 8, v6
	v_perm_b32 v11, v6, v6, s11
	v_cmp_lt_u16_sdwa s[0:1], v8, v10 src0_sel:DWORD src1_sel:BYTE_0
	v_cndmask_b32_e64 v6, v6, v11, s[0:1]
	v_lshlrev_b16_e32 v8, 8, v3
	v_and_b32_sdwa v10, v6, s4 dst_sel:DWORD dst_unused:UNUSED_PAD src0_sel:WORD_1 src1_sel:DWORD
	v_or_b32_sdwa v8, v10, v8 dst_sel:WORD_1 dst_unused:UNUSED_PAD src0_sel:DWORD src1_sel:DWORD
	v_and_b32_sdwa v10, v0, s4 dst_sel:DWORD dst_unused:UNUSED_PAD src0_sel:WORD_1 src1_sel:DWORD
	v_lshlrev_b16_e32 v1, 8, v1
	v_or_b32_sdwa v1, v10, v1 dst_sel:WORD_1 dst_unused:UNUSED_PAD src0_sel:DWORD src1_sel:DWORD
	v_and_or_b32 v1, v0, s5, v1
	v_and_b32_e32 v7, 0xffffff00, v3
	v_cndmask_b32_e32 v0, v0, v1, vcc
	v_and_or_b32 v1, v6, s5, v8
	v_cmp_lt_u16_sdwa vcc, v3, v6 src0_sel:BYTE_0 src1_sel:BYTE_3
	v_or_b32_sdwa v7, v6, v7 dst_sel:DWORD dst_unused:UNUSED_PAD src0_sel:BYTE_3 src1_sel:DWORD
	v_max_u16_e32 v11, v9, v5
	v_min_u16_e32 v5, v9, v5
	v_cndmask_b32_e32 v1, v6, v1, vcc
	v_lshlrev_b16_e32 v6, 8, v4
	v_or_b32_e32 v6, v5, v6
	v_and_b32_e32 v7, 0xffff, v7
	v_and_b32_e32 v6, 0xffff, v6
	v_cndmask_b32_e32 v3, v3, v7, vcc
	v_and_or_b32 v6, v0, s12, v6
	v_cmp_lt_u16_e32 vcc, v5, v4
	v_cndmask_b32_e32 v0, v0, v6, vcc
	v_min_u16_e32 v6, v5, v4
	v_max_u16_e32 v4, v5, v4
	v_lshlrev_b16_e32 v5, 8, v11
	v_or_b32_sdwa v5, v0, v5 dst_sel:WORD_1 dst_unused:UNUSED_PAD src0_sel:BYTE_3 src1_sel:DWORD
	v_and_or_b32 v5, v0, s5, v5
	v_cmp_lt_u16_sdwa vcc, v0, v11 src0_sel:BYTE_3 src1_sel:DWORD
	v_lshrrev_b32_e32 v8, 8, v1
	v_perm_b32 v7, v1, v1, s10
	v_cndmask_b32_e32 v5, v0, v5, vcc
	v_cmp_lt_u16_sdwa vcc, v8, v1 src0_sel:BYTE_0 src1_sel:BYTE_0
	v_cndmask_b32_e32 v1, v1, v7, vcc
	v_and_b32_sdwa v7, v1, s4 dst_sel:DWORD dst_unused:UNUSED_PAD src0_sel:WORD_1 src1_sel:DWORD
	v_perm_b32 v8, v1, v1, s9
	v_cmp_lt_u16_sdwa vcc, v1, v7 src0_sel:BYTE_3 src1_sel:DWORD
	v_cndmask_b32_e32 v1, v1, v8, vcc
	v_lshrrev_b32_e32 v8, 8, v3
	v_min_u16_sdwa v0, v0, v11 dst_sel:DWORD dst_unused:UNUSED_PAD src0_sel:BYTE_3 src1_sel:DWORD
	v_perm_b32 v9, 0, v3, s6
	v_cmp_lt_u16_sdwa vcc, v8, v3 src0_sel:BYTE_0 src1_sel:BYTE_0
	v_and_b32_sdwa v7, v5, s7 dst_sel:DWORD dst_unused:UNUSED_PAD src0_sel:WORD_1 src1_sel:DWORD
	v_cndmask_b32_e32 v3, v3, v9, vcc
	v_lshlrev_b16_e32 v9, 8, v0
	v_or_b32_sdwa v7, v4, v7 dst_sel:WORD_1 dst_unused:UNUSED_PAD src0_sel:DWORD src1_sel:DWORD
	v_or_b32_sdwa v9, v5, v9 dst_sel:DWORD dst_unused:UNUSED_PAD src0_sel:BYTE_0 src1_sel:DWORD
	v_or_b32_sdwa v7, v9, v7 dst_sel:DWORD dst_unused:UNUSED_PAD src0_sel:WORD_0 src1_sel:DWORD
	v_cmp_lt_u16_e32 vcc, v0, v4
	v_cndmask_b32_e32 v5, v5, v7, vcc
	v_perm_b32 v7, v5, v1, s8
	v_cmp_lt_u16_sdwa vcc, v1, v5 src0_sel:BYTE_0 src1_sel:BYTE_3
	v_cndmask_b32_e32 v7, v1, v7, vcc
	v_and_b32_sdwa v9, v7, s4 dst_sel:DWORD dst_unused:UNUSED_PAD src0_sel:WORD_1 src1_sel:DWORD
	v_lshrrev_b32_e32 v10, 8, v7
	v_perm_b32 v11, v7, v7, s11
	v_cmp_lt_u16_sdwa s[0:1], v9, v10 src0_sel:DWORD src1_sel:BYTE_0
	v_cndmask_b32_e64 v7, v7, v11, s[0:1]
	v_lshlrev_b16_e32 v9, 8, v3
	v_and_b32_sdwa v10, v7, s4 dst_sel:DWORD dst_unused:UNUSED_PAD src0_sel:WORD_1 src1_sel:DWORD
	v_or_b32_sdwa v9, v10, v9 dst_sel:WORD_1 dst_unused:UNUSED_PAD src0_sel:DWORD src1_sel:DWORD
	v_and_b32_sdwa v10, v5, s4 dst_sel:DWORD dst_unused:UNUSED_PAD src0_sel:WORD_1 src1_sel:DWORD
	v_lshlrev_b16_e32 v1, 8, v1
	v_or_b32_sdwa v1, v10, v1 dst_sel:WORD_1 dst_unused:UNUSED_PAD src0_sel:DWORD src1_sel:DWORD
	v_and_or_b32 v1, v5, s5, v1
	v_and_b32_e32 v8, 0xffffff00, v3
	v_cndmask_b32_e32 v1, v5, v1, vcc
	v_and_or_b32 v5, v7, s5, v9
	v_cmp_lt_u16_sdwa vcc, v3, v7 src0_sel:BYTE_0 src1_sel:BYTE_3
	v_or_b32_sdwa v8, v7, v8 dst_sel:DWORD dst_unused:UNUSED_PAD src0_sel:BYTE_3 src1_sel:DWORD
	v_max_u16_e32 v11, v0, v4
	v_min_u16_e32 v4, v0, v4
	v_cndmask_b32_e32 v5, v7, v5, vcc
	v_lshlrev_b16_e32 v7, 8, v6
	v_or_b32_e32 v7, v4, v7
	v_and_b32_e32 v8, 0xffff, v8
	v_and_b32_e32 v7, 0xffff, v7
	v_cndmask_b32_e32 v3, v3, v8, vcc
	v_and_or_b32 v7, v1, s12, v7
	v_cmp_lt_u16_e32 vcc, v0, v6
	v_cndmask_b32_e32 v0, v1, v7, vcc
	v_cndmask_b32_e32 v1, v6, v4, vcc
	;; [unrolled: 1-line block ×3, first 2 shown]
	v_lshlrev_b16_e32 v6, 8, v11
	v_or_b32_sdwa v6, v0, v6 dst_sel:WORD_1 dst_unused:UNUSED_PAD src0_sel:BYTE_3 src1_sel:DWORD
	v_and_or_b32 v6, v0, s5, v6
	v_cmp_lt_u16_sdwa vcc, v0, v11 src0_sel:BYTE_3 src1_sel:DWORD
	v_lshrrev_b32_e32 v8, 8, v5
	v_perm_b32 v7, v5, v5, s10
	v_cndmask_b32_e32 v6, v0, v6, vcc
	v_cmp_lt_u16_sdwa vcc, v8, v5 src0_sel:BYTE_0 src1_sel:BYTE_0
	v_cndmask_b32_e32 v5, v5, v7, vcc
	v_and_b32_sdwa v7, v5, s4 dst_sel:DWORD dst_unused:UNUSED_PAD src0_sel:WORD_1 src1_sel:DWORD
	v_perm_b32 v8, v5, v5, s9
	v_cmp_lt_u16_sdwa vcc, v5, v7 src0_sel:BYTE_3 src1_sel:DWORD
	v_cndmask_b32_e32 v5, v5, v8, vcc
	v_lshrrev_b32_e32 v8, 8, v3
	v_min_u16_sdwa v0, v0, v11 dst_sel:DWORD dst_unused:UNUSED_PAD src0_sel:BYTE_3 src1_sel:DWORD
	v_perm_b32 v9, 0, v3, s6
	v_cmp_lt_u16_sdwa vcc, v8, v3 src0_sel:BYTE_0 src1_sel:BYTE_0
	v_and_b32_sdwa v7, v6, s7 dst_sel:DWORD dst_unused:UNUSED_PAD src0_sel:WORD_1 src1_sel:DWORD
	v_cndmask_b32_e32 v3, v3, v9, vcc
	v_lshlrev_b16_e32 v9, 8, v0
	v_or_b32_sdwa v7, v4, v7 dst_sel:WORD_1 dst_unused:UNUSED_PAD src0_sel:DWORD src1_sel:DWORD
	v_or_b32_sdwa v9, v6, v9 dst_sel:DWORD dst_unused:UNUSED_PAD src0_sel:BYTE_0 src1_sel:DWORD
	v_or_b32_sdwa v7, v9, v7 dst_sel:DWORD dst_unused:UNUSED_PAD src0_sel:WORD_0 src1_sel:DWORD
	v_cmp_lt_u16_e32 vcc, v0, v4
	v_cndmask_b32_e32 v6, v6, v7, vcc
	v_perm_b32 v7, v6, v5, s8
	v_cmp_lt_u16_sdwa vcc, v5, v6 src0_sel:BYTE_0 src1_sel:BYTE_3
	v_cndmask_b32_e32 v7, v5, v7, vcc
	v_and_b32_sdwa v9, v7, s4 dst_sel:DWORD dst_unused:UNUSED_PAD src0_sel:WORD_1 src1_sel:DWORD
	v_lshrrev_b32_e32 v10, 8, v7
	v_perm_b32 v11, v7, v7, s11
	v_cmp_lt_u16_sdwa s[0:1], v9, v10 src0_sel:DWORD src1_sel:BYTE_0
	v_cndmask_b32_e64 v7, v7, v11, s[0:1]
	v_lshlrev_b16_e32 v9, 8, v3
	v_and_b32_sdwa v10, v7, s4 dst_sel:DWORD dst_unused:UNUSED_PAD src0_sel:WORD_1 src1_sel:DWORD
	v_or_b32_sdwa v9, v10, v9 dst_sel:WORD_1 dst_unused:UNUSED_PAD src0_sel:DWORD src1_sel:DWORD
	v_and_b32_sdwa v10, v6, s4 dst_sel:DWORD dst_unused:UNUSED_PAD src0_sel:WORD_1 src1_sel:DWORD
	v_max_u16_e32 v11, v0, v4
	v_min_u16_e32 v0, v0, v4
	v_lshlrev_b16_e32 v4, 8, v5
	v_and_b32_e32 v8, 0xffffff00, v3
	v_or_b32_sdwa v4, v10, v4 dst_sel:WORD_1 dst_unused:UNUSED_PAD src0_sel:DWORD src1_sel:DWORD
	v_or_b32_sdwa v8, v7, v8 dst_sel:DWORD dst_unused:UNUSED_PAD src0_sel:BYTE_3 src1_sel:DWORD
	v_and_or_b32 v4, v6, s5, v4
	v_cndmask_b32_e32 v4, v6, v4, vcc
	v_and_b32_e32 v6, 0xffff, v8
	v_cmp_lt_u16_sdwa vcc, v3, v7 src0_sel:BYTE_0 src1_sel:BYTE_3
	v_cndmask_b32_e32 v3, v3, v6, vcc
	v_lshlrev_b16_e32 v6, 8, v1
	v_or_b32_e32 v6, v0, v6
	v_and_or_b32 v5, v7, s5, v9
	v_and_b32_e32 v6, 0xffff, v6
	v_cndmask_b32_e32 v5, v7, v5, vcc
	v_and_or_b32 v6, v4, s12, v6
	v_cmp_lt_u16_e32 vcc, v0, v1
	v_cndmask_b32_e32 v4, v4, v6, vcc
	v_max_u16_e32 v0, v0, v1
	v_lshlrev_b16_e32 v1, 8, v11
	v_or_b32_sdwa v1, v4, v1 dst_sel:WORD_1 dst_unused:UNUSED_PAD src0_sel:BYTE_3 src1_sel:DWORD
	v_and_or_b32 v1, v4, s5, v1
	v_cmp_lt_u16_sdwa vcc, v4, v11 src0_sel:BYTE_3 src1_sel:DWORD
	v_lshrrev_b32_e32 v7, 8, v5
	v_perm_b32 v6, v5, v5, s10
	v_cndmask_b32_e32 v1, v4, v1, vcc
	v_cmp_lt_u16_sdwa vcc, v7, v5 src0_sel:BYTE_0 src1_sel:BYTE_0
	v_cndmask_b32_e32 v5, v5, v6, vcc
	v_and_b32_sdwa v6, v5, s4 dst_sel:DWORD dst_unused:UNUSED_PAD src0_sel:WORD_1 src1_sel:DWORD
	v_perm_b32 v7, v5, v5, s9
	v_cmp_lt_u16_sdwa vcc, v5, v6 src0_sel:BYTE_3 src1_sel:DWORD
	v_cndmask_b32_e32 v5, v5, v7, vcc
	v_lshrrev_b32_e32 v7, 8, v3
	v_min_u16_sdwa v4, v4, v11 dst_sel:DWORD dst_unused:UNUSED_PAD src0_sel:BYTE_3 src1_sel:DWORD
	v_perm_b32 v8, 0, v3, s6
	v_cmp_lt_u16_sdwa vcc, v7, v3 src0_sel:BYTE_0 src1_sel:BYTE_0
	v_and_b32_sdwa v6, v1, s7 dst_sel:DWORD dst_unused:UNUSED_PAD src0_sel:WORD_1 src1_sel:DWORD
	v_cndmask_b32_e32 v3, v3, v8, vcc
	v_lshlrev_b16_e32 v8, 8, v4
	v_or_b32_sdwa v6, v0, v6 dst_sel:WORD_1 dst_unused:UNUSED_PAD src0_sel:DWORD src1_sel:DWORD
	v_or_b32_sdwa v8, v1, v8 dst_sel:DWORD dst_unused:UNUSED_PAD src0_sel:BYTE_0 src1_sel:DWORD
	v_or_b32_sdwa v6, v8, v6 dst_sel:DWORD dst_unused:UNUSED_PAD src0_sel:WORD_0 src1_sel:DWORD
	v_cmp_lt_u16_e32 vcc, v4, v0
	v_cndmask_b32_e32 v0, v1, v6, vcc
	v_perm_b32 v1, v0, v5, s8
	v_cmp_lt_u16_sdwa vcc, v5, v0 src0_sel:BYTE_0 src1_sel:BYTE_3
	v_cndmask_b32_e32 v1, v5, v1, vcc
	v_and_b32_sdwa v4, v1, s4 dst_sel:DWORD dst_unused:UNUSED_PAD src0_sel:WORD_1 src1_sel:DWORD
	v_lshrrev_b32_e32 v6, 8, v1
	v_perm_b32 v8, v1, v1, s11
	v_cmp_lt_u16_sdwa s[0:1], v4, v6 src0_sel:DWORD src1_sel:BYTE_0
	v_and_b32_e32 v7, 0xffffff00, v3
	v_cndmask_b32_e64 v1, v1, v8, s[0:1]
	v_or_b32_sdwa v4, v1, v7 dst_sel:DWORD dst_unused:UNUSED_PAD src0_sel:BYTE_3 src1_sel:DWORD
	v_lshlrev_b16_e32 v6, 8, v3
	v_and_b32_sdwa v7, v1, s4 dst_sel:DWORD dst_unused:UNUSED_PAD src0_sel:WORD_1 src1_sel:DWORD
	v_or_b32_sdwa v6, v7, v6 dst_sel:WORD_1 dst_unused:UNUSED_PAD src0_sel:DWORD src1_sel:DWORD
	v_and_b32_sdwa v7, v0, s4 dst_sel:DWORD dst_unused:UNUSED_PAD src0_sel:WORD_1 src1_sel:DWORD
	v_lshlrev_b16_e32 v5, 8, v5
	v_or_b32_sdwa v5, v7, v5 dst_sel:WORD_1 dst_unused:UNUSED_PAD src0_sel:DWORD src1_sel:DWORD
	v_and_or_b32 v5, v0, s5, v5
	v_cndmask_b32_e32 v0, v0, v5, vcc
	v_and_b32_e32 v4, 0xffff, v4
	v_cmp_lt_u16_sdwa vcc, v3, v1 src0_sel:BYTE_0 src1_sel:BYTE_3
	v_cndmask_b32_e32 v3, v3, v4, vcc
	v_lshrrev_b32_e32 v4, 16, v0
	s_mov_b32 s0, 0x7000504
	v_perm_b32 v0, v0, v4, s0
	s_mov_b32 s0, 0xc0c0104
	v_and_or_b32 v5, v1, s5, v6
	v_perm_b32 v3, v3, v3, s0
	v_cndmask_b32_e32 v1, v1, v5, vcc
	global_store_short v2, v3, s[2:3] offset:8
	global_store_dwordx2 v2, v[0:1], s[2:3]
	s_endpgm
	.section	.rodata,"a",@progbits
	.p2align	6, 0x0
	.amdhsa_kernel _Z9sort_keysILj256ELj10EhN10test_utils4lessEEvPT1_T2_
		.amdhsa_group_segment_fixed_size 0
		.amdhsa_private_segment_fixed_size 0
		.amdhsa_kernarg_size 12
		.amdhsa_user_sgpr_count 6
		.amdhsa_user_sgpr_private_segment_buffer 1
		.amdhsa_user_sgpr_dispatch_ptr 0
		.amdhsa_user_sgpr_queue_ptr 0
		.amdhsa_user_sgpr_kernarg_segment_ptr 1
		.amdhsa_user_sgpr_dispatch_id 0
		.amdhsa_user_sgpr_flat_scratch_init 0
		.amdhsa_user_sgpr_private_segment_size 0
		.amdhsa_uses_dynamic_stack 0
		.amdhsa_system_sgpr_private_segment_wavefront_offset 0
		.amdhsa_system_sgpr_workgroup_id_x 1
		.amdhsa_system_sgpr_workgroup_id_y 0
		.amdhsa_system_sgpr_workgroup_id_z 0
		.amdhsa_system_sgpr_workgroup_info 0
		.amdhsa_system_vgpr_workitem_id 0
		.amdhsa_next_free_vgpr 18
		.amdhsa_next_free_sgpr 13
		.amdhsa_reserve_vcc 1
		.amdhsa_reserve_flat_scratch 0
		.amdhsa_float_round_mode_32 0
		.amdhsa_float_round_mode_16_64 0
		.amdhsa_float_denorm_mode_32 3
		.amdhsa_float_denorm_mode_16_64 3
		.amdhsa_dx10_clamp 1
		.amdhsa_ieee_mode 1
		.amdhsa_fp16_overflow 0
		.amdhsa_exception_fp_ieee_invalid_op 0
		.amdhsa_exception_fp_denorm_src 0
		.amdhsa_exception_fp_ieee_div_zero 0
		.amdhsa_exception_fp_ieee_overflow 0
		.amdhsa_exception_fp_ieee_underflow 0
		.amdhsa_exception_fp_ieee_inexact 0
		.amdhsa_exception_int_div_zero 0
	.end_amdhsa_kernel
	.section	.text._Z9sort_keysILj256ELj10EhN10test_utils4lessEEvPT1_T2_,"axG",@progbits,_Z9sort_keysILj256ELj10EhN10test_utils4lessEEvPT1_T2_,comdat
.Lfunc_end4:
	.size	_Z9sort_keysILj256ELj10EhN10test_utils4lessEEvPT1_T2_, .Lfunc_end4-_Z9sort_keysILj256ELj10EhN10test_utils4lessEEvPT1_T2_
                                        ; -- End function
	.set _Z9sort_keysILj256ELj10EhN10test_utils4lessEEvPT1_T2_.num_vgpr, 18
	.set _Z9sort_keysILj256ELj10EhN10test_utils4lessEEvPT1_T2_.num_agpr, 0
	.set _Z9sort_keysILj256ELj10EhN10test_utils4lessEEvPT1_T2_.numbered_sgpr, 13
	.set _Z9sort_keysILj256ELj10EhN10test_utils4lessEEvPT1_T2_.num_named_barrier, 0
	.set _Z9sort_keysILj256ELj10EhN10test_utils4lessEEvPT1_T2_.private_seg_size, 0
	.set _Z9sort_keysILj256ELj10EhN10test_utils4lessEEvPT1_T2_.uses_vcc, 1
	.set _Z9sort_keysILj256ELj10EhN10test_utils4lessEEvPT1_T2_.uses_flat_scratch, 0
	.set _Z9sort_keysILj256ELj10EhN10test_utils4lessEEvPT1_T2_.has_dyn_sized_stack, 0
	.set _Z9sort_keysILj256ELj10EhN10test_utils4lessEEvPT1_T2_.has_recursion, 0
	.set _Z9sort_keysILj256ELj10EhN10test_utils4lessEEvPT1_T2_.has_indirect_call, 0
	.section	.AMDGPU.csdata,"",@progbits
; Kernel info:
; codeLenInByte = 2080
; TotalNumSgprs: 17
; NumVgprs: 18
; ScratchSize: 0
; MemoryBound: 0
; FloatMode: 240
; IeeeMode: 1
; LDSByteSize: 0 bytes/workgroup (compile time only)
; SGPRBlocks: 2
; VGPRBlocks: 4
; NumSGPRsForWavesPerEU: 17
; NumVGPRsForWavesPerEU: 18
; Occupancy: 10
; WaveLimiterHint : 0
; COMPUTE_PGM_RSRC2:SCRATCH_EN: 0
; COMPUTE_PGM_RSRC2:USER_SGPR: 6
; COMPUTE_PGM_RSRC2:TRAP_HANDLER: 0
; COMPUTE_PGM_RSRC2:TGID_X_EN: 1
; COMPUTE_PGM_RSRC2:TGID_Y_EN: 0
; COMPUTE_PGM_RSRC2:TGID_Z_EN: 0
; COMPUTE_PGM_RSRC2:TIDIG_COMP_CNT: 0
	.section	.text._Z9sort_keysILj256ELj9EyN10test_utils4lessEEvPT1_T2_,"axG",@progbits,_Z9sort_keysILj256ELj9EyN10test_utils4lessEEvPT1_T2_,comdat
	.protected	_Z9sort_keysILj256ELj9EyN10test_utils4lessEEvPT1_T2_ ; -- Begin function _Z9sort_keysILj256ELj9EyN10test_utils4lessEEvPT1_T2_
	.globl	_Z9sort_keysILj256ELj9EyN10test_utils4lessEEvPT1_T2_
	.p2align	8
	.type	_Z9sort_keysILj256ELj9EyN10test_utils4lessEEvPT1_T2_,@function
_Z9sort_keysILj256ELj9EyN10test_utils4lessEEvPT1_T2_: ; @_Z9sort_keysILj256ELj9EyN10test_utils4lessEEvPT1_T2_
; %bb.0:
	s_load_dwordx2 s[0:1], s[4:5], 0x0
	s_mul_i32 s2, s6, 0x900
	s_mov_b32 s3, 0
	s_lshl_b64 s[2:3], s[2:3], 3
	v_mul_u32_u24_e32 v0, 9, v0
	s_waitcnt lgkmcnt(0)
	s_add_u32 s2, s0, s2
	s_addc_u32 s3, s1, s3
	v_lshlrev_b32_e32 v0, 3, v0
	global_load_dwordx4 v[1:4], v0, s[2:3]
	global_load_dwordx4 v[5:8], v0, s[2:3] offset:48
	global_load_dwordx4 v[9:12], v0, s[2:3] offset:32
	;; [unrolled: 1-line block ×3, first 2 shown]
	global_load_dwordx2 v[17:18], v0, s[2:3] offset:64
	s_waitcnt vmcnt(4)
	v_cmp_lt_u64_e32 vcc, v[3:4], v[1:2]
	v_cndmask_b32_e32 v21, v4, v2, vcc
	v_cndmask_b32_e32 v22, v3, v1, vcc
	;; [unrolled: 1-line block ×4, first 2 shown]
	v_cmp_gt_u64_e32 vcc, v[3:4], v[1:2]
	v_cndmask_b32_e32 v2, v2, v4, vcc
	v_cndmask_b32_e32 v1, v1, v3, vcc
	s_waitcnt vmcnt(1)
	v_cmp_lt_u64_e32 vcc, v[15:16], v[13:14]
	v_cndmask_b32_e32 v4, v16, v14, vcc
	v_cndmask_b32_e32 v3, v15, v13, vcc
	;; [unrolled: 1-line block ×4, first 2 shown]
	v_cmp_lt_u64_e32 vcc, v[11:12], v[9:10]
	v_cmp_gt_u64_e64 s[0:1], v[13:14], v[1:2]
	v_cndmask_b32_e32 v16, v12, v10, vcc
	v_cndmask_b32_e32 v15, v11, v9, vcc
	v_cndmask_b32_e32 v10, v10, v12, vcc
	v_cndmask_b32_e32 v9, v9, v11, vcc
	v_cmp_lt_u64_e32 vcc, v[7:8], v[5:6]
	v_cndmask_b32_e32 v12, v8, v6, vcc
	v_cndmask_b32_e32 v11, v7, v5, vcc
	;; [unrolled: 1-line block ×4, first 2 shown]
	v_cmp_lt_u64_e32 vcc, v[13:14], v[1:2]
	v_cndmask_b32_e64 v8, v2, v14, s[0:1]
	v_cndmask_b32_e32 v23, v13, v1, vcc
	v_cndmask_b32_e32 v24, v14, v2, vcc
	;; [unrolled: 1-line block ×6, first 2 shown]
	v_cmp_lt_u64_e32 vcc, v[9:10], v[3:4]
	v_cndmask_b32_e64 v7, v1, v13, s[0:1]
	v_cndmask_b32_e32 v2, v10, v4, vcc
	v_cndmask_b32_e32 v1, v9, v3, vcc
	;; [unrolled: 1-line block ×4, first 2 shown]
	v_cmp_lt_u64_e32 vcc, v[5:6], v[15:16]
	v_cndmask_b32_e32 v10, v6, v16, vcc
	v_cndmask_b32_e32 v9, v5, v15, vcc
	;; [unrolled: 1-line block ×4, first 2 shown]
	s_waitcnt vmcnt(0)
	v_cmp_lt_u64_e32 vcc, v[17:18], v[11:12]
	v_cndmask_b32_e32 v16, v18, v12, vcc
	v_cndmask_b32_e32 v15, v17, v11, vcc
	v_cndmask_b32_e32 v12, v12, v18, vcc
	v_cndmask_b32_e32 v11, v11, v17, vcc
	v_cmp_lt_u64_e32 vcc, v[13:14], v[19:20]
	v_cndmask_b32_e32 v21, v21, v20, vcc
	v_cndmask_b32_e32 v22, v22, v19, vcc
	;; [unrolled: 1-line block ×6, first 2 shown]
	v_cmp_lt_u64_e32 vcc, v[3:4], v[7:8]
	v_cndmask_b32_e32 v20, v4, v8, vcc
	v_cndmask_b32_e32 v19, v3, v7, vcc
	;; [unrolled: 1-line block ×6, first 2 shown]
	v_cmp_lt_u64_e32 vcc, v[5:6], v[1:2]
	v_cmp_gt_u64_e64 s[0:1], v[3:4], v[17:18]
	v_cndmask_b32_e32 v8, v6, v2, vcc
	v_cndmask_b32_e32 v7, v5, v1, vcc
	;; [unrolled: 1-line block ×4, first 2 shown]
	v_cmp_lt_u64_e32 vcc, v[11:12], v[9:10]
	v_cndmask_b32_e32 v6, v12, v10, vcc
	v_cndmask_b32_e32 v5, v11, v9, vcc
	;; [unrolled: 1-line block ×4, first 2 shown]
	v_cmp_lt_u64_e32 vcc, v[3:4], v[17:18]
	v_cndmask_b32_e64 v12, v18, v4, s[0:1]
	v_cndmask_b32_e32 v23, v23, v17, vcc
	v_cndmask_b32_e32 v24, v24, v18, vcc
	;; [unrolled: 1-line block ×4, first 2 shown]
	v_cndmask_b32_e64 v11, v17, v3, s[0:1]
	v_cndmask_b32_e32 v4, v18, v4, vcc
	v_cndmask_b32_e32 v3, v17, v3, vcc
	v_cmp_lt_u64_e32 vcc, v[1:2], v[19:20]
	v_cndmask_b32_e32 v18, v2, v20, vcc
	v_cndmask_b32_e32 v17, v1, v19, vcc
	v_cndmask_b32_e32 v2, v20, v2, vcc
	v_cndmask_b32_e32 v1, v19, v1, vcc
	v_cmp_lt_u64_e32 vcc, v[9:10], v[7:8]
	v_cndmask_b32_e32 v20, v10, v8, vcc
	v_cndmask_b32_e32 v19, v9, v7, vcc
	v_cndmask_b32_e32 v8, v8, v10, vcc
	v_cndmask_b32_e32 v7, v7, v9, vcc
	v_cmp_lt_u64_e32 vcc, v[15:16], v[5:6]
	v_cndmask_b32_e32 v10, v16, v6, vcc
	v_cndmask_b32_e32 v9, v15, v5, vcc
	v_cndmask_b32_e32 v6, v6, v16, vcc
	v_cndmask_b32_e32 v5, v5, v15, vcc
	v_cmp_lt_u64_e32 vcc, v[3:4], v[13:14]
	v_cndmask_b32_e32 v16, v14, v4, vcc
	v_cndmask_b32_e32 v15, v13, v3, vcc
	v_cndmask_b32_e32 v21, v21, v14, vcc
	v_cndmask_b32_e32 v22, v22, v13, vcc
	v_cmp_gt_u64_e32 vcc, v[3:4], v[13:14]
	v_cndmask_b32_e32 v4, v14, v4, vcc
	v_cndmask_b32_e32 v3, v13, v3, vcc
	v_cmp_lt_u64_e32 vcc, v[1:2], v[11:12]
	v_cndmask_b32_e32 v14, v2, v12, vcc
	v_cndmask_b32_e32 v13, v1, v11, vcc
	;; [unrolled: 1-line block ×6, first 2 shown]
	v_cmp_lt_u64_e32 vcc, v[7:8], v[17:18]
	v_cmp_gt_u64_e64 s[0:1], v[1:2], v[3:4]
	v_cndmask_b32_e32 v12, v8, v18, vcc
	v_cndmask_b32_e32 v11, v7, v17, vcc
	;; [unrolled: 1-line block ×4, first 2 shown]
	v_cmp_lt_u64_e32 vcc, v[5:6], v[19:20]
	v_cndmask_b32_e32 v18, v6, v20, vcc
	v_cndmask_b32_e32 v17, v5, v19, vcc
	;; [unrolled: 1-line block ×4, first 2 shown]
	v_cmp_lt_u64_e32 vcc, v[1:2], v[3:4]
	v_cndmask_b32_e64 v20, v4, v2, s[0:1]
	v_cndmask_b32_e32 v23, v23, v3, vcc
	v_cndmask_b32_e32 v24, v24, v4, vcc
	;; [unrolled: 1-line block ×6, first 2 shown]
	v_cmp_lt_u64_e32 vcc, v[7:8], v[13:14]
	v_cndmask_b32_e64 v19, v3, v1, s[0:1]
	v_cndmask_b32_e32 v4, v8, v14, vcc
	v_cndmask_b32_e32 v3, v7, v13, vcc
	v_cndmask_b32_e32 v8, v14, v8, vcc
	v_cndmask_b32_e32 v7, v13, v7, vcc
	v_cmp_lt_u64_e32 vcc, v[5:6], v[11:12]
	v_cndmask_b32_e32 v14, v6, v12, vcc
	v_cndmask_b32_e32 v13, v5, v11, vcc
	v_cndmask_b32_e32 v6, v12, v6, vcc
	v_cndmask_b32_e32 v5, v11, v5, vcc
	v_cmp_lt_u64_e32 vcc, v[9:10], v[17:18]
	;; [unrolled: 5-line block ×3, first 2 shown]
	v_cndmask_b32_e32 v2, v16, v26, vcc
	v_cndmask_b32_e32 v1, v15, v25, vcc
	;; [unrolled: 1-line block ×6, first 2 shown]
	v_cmp_lt_u64_e32 vcc, v[7:8], v[19:20]
	v_cndmask_b32_e32 v18, v8, v20, vcc
	v_cndmask_b32_e32 v17, v7, v19, vcc
	;; [unrolled: 1-line block ×6, first 2 shown]
	v_cmp_lt_u64_e32 vcc, v[5:6], v[3:4]
	v_cmp_gt_u64_e64 s[0:1], v[7:8], v[15:16]
	v_cndmask_b32_e32 v20, v6, v4, vcc
	v_cndmask_b32_e32 v19, v5, v3, vcc
	;; [unrolled: 1-line block ×4, first 2 shown]
	v_cmp_lt_u64_e32 vcc, v[9:10], v[13:14]
	v_cndmask_b32_e32 v6, v10, v14, vcc
	v_cndmask_b32_e32 v5, v9, v13, vcc
	;; [unrolled: 1-line block ×4, first 2 shown]
	v_cmp_lt_u64_e32 vcc, v[7:8], v[15:16]
	v_cndmask_b32_e64 v14, v16, v8, s[0:1]
	v_cndmask_b32_e32 v25, v23, v15, vcc
	v_cndmask_b32_e32 v26, v24, v16, vcc
	;; [unrolled: 1-line block ×4, first 2 shown]
	v_cndmask_b32_e64 v13, v15, v7, s[0:1]
	v_cndmask_b32_e32 v8, v16, v8, vcc
	v_cndmask_b32_e32 v7, v15, v7, vcc
	v_cmp_lt_u64_e32 vcc, v[3:4], v[17:18]
	v_cndmask_b32_e32 v16, v4, v18, vcc
	v_cndmask_b32_e32 v15, v3, v17, vcc
	v_cndmask_b32_e32 v18, v18, v4, vcc
	v_cndmask_b32_e32 v17, v17, v3, vcc
	v_cmp_lt_u64_e32 vcc, v[9:10], v[19:20]
	v_cndmask_b32_e32 v22, v10, v20, vcc
	v_cndmask_b32_e32 v21, v9, v19, vcc
	;; [unrolled: 5-line block ×7, first 2 shown]
	v_cndmask_b32_e32 v14, v22, v24, vcc
	v_cndmask_b32_e32 v13, v21, v23, vcc
	global_store_dwordx4 v0, v[1:4], s[2:3]
	global_store_dwordx4 v0, v[5:8], s[2:3] offset:16
	global_store_dwordx4 v0, v[9:12], s[2:3] offset:32
	;; [unrolled: 1-line block ×3, first 2 shown]
	global_store_dwordx2 v0, v[19:20], s[2:3] offset:64
	s_endpgm
	.section	.rodata,"a",@progbits
	.p2align	6, 0x0
	.amdhsa_kernel _Z9sort_keysILj256ELj9EyN10test_utils4lessEEvPT1_T2_
		.amdhsa_group_segment_fixed_size 0
		.amdhsa_private_segment_fixed_size 0
		.amdhsa_kernarg_size 12
		.amdhsa_user_sgpr_count 6
		.amdhsa_user_sgpr_private_segment_buffer 1
		.amdhsa_user_sgpr_dispatch_ptr 0
		.amdhsa_user_sgpr_queue_ptr 0
		.amdhsa_user_sgpr_kernarg_segment_ptr 1
		.amdhsa_user_sgpr_dispatch_id 0
		.amdhsa_user_sgpr_flat_scratch_init 0
		.amdhsa_user_sgpr_private_segment_size 0
		.amdhsa_uses_dynamic_stack 0
		.amdhsa_system_sgpr_private_segment_wavefront_offset 0
		.amdhsa_system_sgpr_workgroup_id_x 1
		.amdhsa_system_sgpr_workgroup_id_y 0
		.amdhsa_system_sgpr_workgroup_id_z 0
		.amdhsa_system_sgpr_workgroup_info 0
		.amdhsa_system_vgpr_workitem_id 0
		.amdhsa_next_free_vgpr 29
		.amdhsa_next_free_sgpr 7
		.amdhsa_reserve_vcc 1
		.amdhsa_reserve_flat_scratch 0
		.amdhsa_float_round_mode_32 0
		.amdhsa_float_round_mode_16_64 0
		.amdhsa_float_denorm_mode_32 3
		.amdhsa_float_denorm_mode_16_64 3
		.amdhsa_dx10_clamp 1
		.amdhsa_ieee_mode 1
		.amdhsa_fp16_overflow 0
		.amdhsa_exception_fp_ieee_invalid_op 0
		.amdhsa_exception_fp_denorm_src 0
		.amdhsa_exception_fp_ieee_div_zero 0
		.amdhsa_exception_fp_ieee_overflow 0
		.amdhsa_exception_fp_ieee_underflow 0
		.amdhsa_exception_fp_ieee_inexact 0
		.amdhsa_exception_int_div_zero 0
	.end_amdhsa_kernel
	.section	.text._Z9sort_keysILj256ELj9EyN10test_utils4lessEEvPT1_T2_,"axG",@progbits,_Z9sort_keysILj256ELj9EyN10test_utils4lessEEvPT1_T2_,comdat
.Lfunc_end5:
	.size	_Z9sort_keysILj256ELj9EyN10test_utils4lessEEvPT1_T2_, .Lfunc_end5-_Z9sort_keysILj256ELj9EyN10test_utils4lessEEvPT1_T2_
                                        ; -- End function
	.set _Z9sort_keysILj256ELj9EyN10test_utils4lessEEvPT1_T2_.num_vgpr, 29
	.set _Z9sort_keysILj256ELj9EyN10test_utils4lessEEvPT1_T2_.num_agpr, 0
	.set _Z9sort_keysILj256ELj9EyN10test_utils4lessEEvPT1_T2_.numbered_sgpr, 7
	.set _Z9sort_keysILj256ELj9EyN10test_utils4lessEEvPT1_T2_.num_named_barrier, 0
	.set _Z9sort_keysILj256ELj9EyN10test_utils4lessEEvPT1_T2_.private_seg_size, 0
	.set _Z9sort_keysILj256ELj9EyN10test_utils4lessEEvPT1_T2_.uses_vcc, 1
	.set _Z9sort_keysILj256ELj9EyN10test_utils4lessEEvPT1_T2_.uses_flat_scratch, 0
	.set _Z9sort_keysILj256ELj9EyN10test_utils4lessEEvPT1_T2_.has_dyn_sized_stack, 0
	.set _Z9sort_keysILj256ELj9EyN10test_utils4lessEEvPT1_T2_.has_recursion, 0
	.set _Z9sort_keysILj256ELj9EyN10test_utils4lessEEvPT1_T2_.has_indirect_call, 0
	.section	.AMDGPU.csdata,"",@progbits
; Kernel info:
; codeLenInByte = 1052
; TotalNumSgprs: 11
; NumVgprs: 29
; ScratchSize: 0
; MemoryBound: 0
; FloatMode: 240
; IeeeMode: 1
; LDSByteSize: 0 bytes/workgroup (compile time only)
; SGPRBlocks: 1
; VGPRBlocks: 7
; NumSGPRsForWavesPerEU: 11
; NumVGPRsForWavesPerEU: 29
; Occupancy: 8
; WaveLimiterHint : 0
; COMPUTE_PGM_RSRC2:SCRATCH_EN: 0
; COMPUTE_PGM_RSRC2:USER_SGPR: 6
; COMPUTE_PGM_RSRC2:TRAP_HANDLER: 0
; COMPUTE_PGM_RSRC2:TGID_X_EN: 1
; COMPUTE_PGM_RSRC2:TGID_Y_EN: 0
; COMPUTE_PGM_RSRC2:TGID_Z_EN: 0
; COMPUTE_PGM_RSRC2:TIDIG_COMP_CNT: 0
	.section	.text._Z9sort_keysILj256ELj8EtN10test_utils4lessEEvPT1_T2_,"axG",@progbits,_Z9sort_keysILj256ELj8EtN10test_utils4lessEEvPT1_T2_,comdat
	.protected	_Z9sort_keysILj256ELj8EtN10test_utils4lessEEvPT1_T2_ ; -- Begin function _Z9sort_keysILj256ELj8EtN10test_utils4lessEEvPT1_T2_
	.globl	_Z9sort_keysILj256ELj8EtN10test_utils4lessEEvPT1_T2_
	.p2align	8
	.type	_Z9sort_keysILj256ELj8EtN10test_utils4lessEEvPT1_T2_,@function
_Z9sort_keysILj256ELj8EtN10test_utils4lessEEvPT1_T2_: ; @_Z9sort_keysILj256ELj8EtN10test_utils4lessEEvPT1_T2_
; %bb.0:
	s_load_dwordx2 s[0:1], s[4:5], 0x0
	s_lshl_b32 s2, s6, 11
	s_mov_b32 s3, 0
	s_lshl_b64 s[2:3], s[2:3], 1
	v_lshlrev_b32_e32 v4, 4, v0
	s_waitcnt lgkmcnt(0)
	s_add_u32 s0, s0, s2
	s_addc_u32 s1, s1, s3
	global_load_dwordx4 v[0:3], v4, s[0:1]
	s_mov_b32 s2, 0x5040100
	s_mov_b32 s3, 0xffff
	;; [unrolled: 1-line block ×3, first 2 shown]
	s_waitcnt vmcnt(0)
	v_alignbit_b32 v5, v0, v0, 16
	v_cmp_lt_u16_sdwa vcc, v0, v0 src0_sel:WORD_1 src1_sel:DWORD
	v_min_u16_sdwa v6, v0, v0 dst_sel:DWORD dst_unused:UNUSED_PAD src0_sel:WORD_1 src1_sel:DWORD
	v_max_u16_sdwa v7, v0, v0 dst_sel:DWORD dst_unused:UNUSED_PAD src0_sel:WORD_1 src1_sel:DWORD
	v_alignbit_b32 v8, v1, v1, 16
	v_cndmask_b32_e32 v0, v0, v5, vcc
	v_cmp_lt_u16_sdwa vcc, v1, v1 src0_sel:WORD_1 src1_sel:DWORD
	v_min_u16_sdwa v9, v1, v1 dst_sel:DWORD dst_unused:UNUSED_PAD src0_sel:WORD_1 src1_sel:DWORD
	v_alignbit_b32 v10, v2, v2, 16
	v_cndmask_b32_e32 v1, v1, v8, vcc
	v_cmp_lt_u16_sdwa vcc, v2, v2 src0_sel:WORD_1 src1_sel:DWORD
	v_alignbit_b32 v11, v3, v3, 16
	v_cndmask_b32_e32 v2, v2, v10, vcc
	v_cmp_lt_u16_sdwa vcc, v3, v3 src0_sel:WORD_1 src1_sel:DWORD
	v_cndmask_b32_e32 v3, v3, v11, vcc
	v_min_u16_e32 v8, v9, v7
	v_perm_b32 v10, v9, v0, s2
	v_bfi_b32 v11, s3, v7, v1
	v_cmp_lt_u16_e32 vcc, v9, v7
	v_perm_b32 v12, v6, v8, s2
	v_cndmask_b32_e32 v0, v0, v10, vcc
	v_cndmask_b32_e32 v1, v1, v11, vcc
	v_cmp_lt_u16_e32 vcc, v9, v6
	v_max_u16_e32 v5, v9, v7
	v_perm_b32 v7, v2, v1, s4
	v_cndmask_b32_e32 v0, v0, v12, vcc
	v_cndmask_b32_e32 v9, v6, v8, vcc
	;; [unrolled: 1-line block ×3, first 2 shown]
	v_cmp_lt_u16_sdwa vcc, v2, v1 src0_sel:DWORD src1_sel:WORD_1
	v_perm_b32 v10, v2, v1, s2
	v_cndmask_b32_e32 v2, v2, v7, vcc
	v_cndmask_b32_e32 v1, v1, v10, vcc
	v_perm_b32 v7, v3, v2, s4
	v_perm_b32 v8, v3, v2, s2
	v_cmp_lt_u16_sdwa vcc, v3, v2 src0_sel:DWORD src1_sel:WORD_1
	v_alignbit_b32 v10, v5, v1, 16
	v_cndmask_b32_e32 v2, v2, v8, vcc
	v_cndmask_b32_e32 v3, v3, v7, vcc
	v_cmp_lt_u16_sdwa vcc, v1, v5 src0_sel:WORD_1 src1_sel:DWORD
	v_min_u16_sdwa v11, v1, v5 dst_sel:DWORD dst_unused:UNUSED_PAD src0_sel:WORD_1 src1_sel:DWORD
	v_cndmask_b32_e32 v1, v1, v10, vcc
	v_alignbit_b32 v10, v2, v2, 16
	v_cmp_lt_u16_sdwa vcc, v2, v2 src0_sel:WORD_1 src1_sel:DWORD
	v_alignbit_b32 v12, v3, v3, 16
	v_cndmask_b32_e32 v2, v2, v10, vcc
	v_cmp_lt_u16_sdwa vcc, v3, v3 src0_sel:WORD_1 src1_sel:DWORD
	v_perm_b32 v5, v11, v0, s2
	v_min_u16_e32 v8, v11, v6
	v_bfi_b32 v13, s3, v6, v1
	v_cndmask_b32_e32 v3, v3, v12, vcc
	v_cmp_lt_u16_e32 vcc, v11, v6
	v_perm_b32 v14, v9, v8, s2
	v_cndmask_b32_e32 v1, v1, v13, vcc
	v_cndmask_b32_e32 v0, v0, v5, vcc
	v_cmp_lt_u16_e32 vcc, v8, v9
	v_perm_b32 v5, v2, v1, s4
	v_cndmask_b32_e32 v0, v0, v14, vcc
	v_cmp_lt_u16_sdwa vcc, v2, v1 src0_sel:DWORD src1_sel:WORD_1
	v_max_u16_e32 v7, v11, v6
	v_perm_b32 v6, v2, v1, s2
	v_cndmask_b32_e32 v2, v2, v5, vcc
	v_cndmask_b32_e32 v1, v1, v6, vcc
	v_perm_b32 v5, v3, v2, s4
	v_perm_b32 v6, v3, v2, s2
	v_cmp_lt_u16_sdwa vcc, v3, v2 src0_sel:DWORD src1_sel:WORD_1
	v_min_u16_e32 v15, v8, v9
	v_max_u16_e32 v16, v8, v9
	v_alignbit_b32 v8, v7, v1, 16
	v_cndmask_b32_e32 v2, v2, v6, vcc
	v_cndmask_b32_e32 v3, v3, v5, vcc
	v_cmp_lt_u16_sdwa vcc, v1, v7 src0_sel:WORD_1 src1_sel:DWORD
	v_min_u16_sdwa v9, v1, v7 dst_sel:DWORD dst_unused:UNUSED_PAD src0_sel:WORD_1 src1_sel:DWORD
	v_cndmask_b32_e32 v1, v1, v8, vcc
	v_alignbit_b32 v8, v2, v2, 16
	v_cmp_lt_u16_sdwa vcc, v2, v2 src0_sel:WORD_1 src1_sel:DWORD
	v_alignbit_b32 v10, v3, v3, 16
	v_cndmask_b32_e32 v2, v2, v8, vcc
	v_cmp_lt_u16_sdwa vcc, v3, v3 src0_sel:WORD_1 src1_sel:DWORD
	v_bfi_b32 v11, s3, v16, v1
	v_cndmask_b32_e32 v3, v3, v10, vcc
	v_cmp_lt_u16_e32 vcc, v9, v16
	v_perm_b32 v5, v9, v0, s2
	v_cndmask_b32_e32 v1, v1, v11, vcc
	v_cndmask_b32_e32 v0, v0, v5, vcc
	v_perm_b32 v8, v2, v1, s4
	v_cmp_lt_u16_sdwa vcc, v2, v1 src0_sel:DWORD src1_sel:WORD_1
	v_perm_b32 v5, v2, v1, s2
	v_cndmask_b32_e32 v2, v2, v8, vcc
	v_min_u16_e32 v7, v9, v16
	v_cndmask_b32_e32 v1, v1, v5, vcc
	v_perm_b32 v5, v3, v2, s4
	v_perm_b32 v8, v3, v2, s2
	v_cmp_lt_u16_sdwa vcc, v3, v2 src0_sel:DWORD src1_sel:WORD_1
	v_max_u16_e32 v6, v9, v16
	v_cndmask_b32_e32 v2, v2, v8, vcc
	v_cndmask_b32_e32 v3, v3, v5, vcc
	v_perm_b32 v5, v15, v7, s2
	v_cmp_lt_u16_e32 vcc, v9, v15
	v_cndmask_b32_e32 v0, v0, v5, vcc
	v_cndmask_b32_e32 v5, v7, v15, vcc
	v_alignbit_b32 v7, v6, v1, 16
	v_cmp_lt_u16_sdwa vcc, v1, v6 src0_sel:WORD_1 src1_sel:DWORD
	v_cndmask_b32_e32 v7, v1, v7, vcc
	v_min_u16_sdwa v1, v1, v6 dst_sel:DWORD dst_unused:UNUSED_PAD src0_sel:WORD_1 src1_sel:DWORD
	v_alignbit_b32 v6, v2, v2, 16
	v_cmp_lt_u16_sdwa vcc, v2, v2 src0_sel:WORD_1 src1_sel:DWORD
	v_cndmask_b32_e32 v2, v2, v6, vcc
	v_alignbit_b32 v6, v3, v3, 16
	v_cmp_lt_u16_sdwa vcc, v3, v3 src0_sel:WORD_1 src1_sel:DWORD
	v_cndmask_b32_e32 v3, v3, v6, vcc
	v_bfi_b32 v8, s3, v5, v7
	v_cmp_lt_u16_e32 vcc, v1, v5
	v_perm_b32 v6, v1, v0, s2
	v_cndmask_b32_e32 v1, v7, v8, vcc
	v_cndmask_b32_e32 v0, v0, v6, vcc
	v_perm_b32 v6, v2, v1, s4
	v_cmp_lt_u16_sdwa vcc, v2, v1 src0_sel:DWORD src1_sel:WORD_1
	v_perm_b32 v5, v2, v1, s2
	v_cndmask_b32_e32 v2, v2, v6, vcc
	v_cndmask_b32_e32 v1, v1, v5, vcc
	v_perm_b32 v5, v3, v2, s4
	v_perm_b32 v6, v3, v2, s2
	v_cmp_lt_u16_sdwa vcc, v3, v2 src0_sel:DWORD src1_sel:WORD_1
	v_cndmask_b32_e32 v2, v2, v6, vcc
	v_cndmask_b32_e32 v3, v3, v5, vcc
	global_store_dwordx4 v4, v[0:3], s[0:1]
	s_endpgm
	.section	.rodata,"a",@progbits
	.p2align	6, 0x0
	.amdhsa_kernel _Z9sort_keysILj256ELj8EtN10test_utils4lessEEvPT1_T2_
		.amdhsa_group_segment_fixed_size 0
		.amdhsa_private_segment_fixed_size 0
		.amdhsa_kernarg_size 12
		.amdhsa_user_sgpr_count 6
		.amdhsa_user_sgpr_private_segment_buffer 1
		.amdhsa_user_sgpr_dispatch_ptr 0
		.amdhsa_user_sgpr_queue_ptr 0
		.amdhsa_user_sgpr_kernarg_segment_ptr 1
		.amdhsa_user_sgpr_dispatch_id 0
		.amdhsa_user_sgpr_flat_scratch_init 0
		.amdhsa_user_sgpr_private_segment_size 0
		.amdhsa_uses_dynamic_stack 0
		.amdhsa_system_sgpr_private_segment_wavefront_offset 0
		.amdhsa_system_sgpr_workgroup_id_x 1
		.amdhsa_system_sgpr_workgroup_id_y 0
		.amdhsa_system_sgpr_workgroup_id_z 0
		.amdhsa_system_sgpr_workgroup_info 0
		.amdhsa_system_vgpr_workitem_id 0
		.amdhsa_next_free_vgpr 17
		.amdhsa_next_free_sgpr 7
		.amdhsa_reserve_vcc 1
		.amdhsa_reserve_flat_scratch 0
		.amdhsa_float_round_mode_32 0
		.amdhsa_float_round_mode_16_64 0
		.amdhsa_float_denorm_mode_32 3
		.amdhsa_float_denorm_mode_16_64 3
		.amdhsa_dx10_clamp 1
		.amdhsa_ieee_mode 1
		.amdhsa_fp16_overflow 0
		.amdhsa_exception_fp_ieee_invalid_op 0
		.amdhsa_exception_fp_denorm_src 0
		.amdhsa_exception_fp_ieee_div_zero 0
		.amdhsa_exception_fp_ieee_overflow 0
		.amdhsa_exception_fp_ieee_underflow 0
		.amdhsa_exception_fp_ieee_inexact 0
		.amdhsa_exception_int_div_zero 0
	.end_amdhsa_kernel
	.section	.text._Z9sort_keysILj256ELj8EtN10test_utils4lessEEvPT1_T2_,"axG",@progbits,_Z9sort_keysILj256ELj8EtN10test_utils4lessEEvPT1_T2_,comdat
.Lfunc_end6:
	.size	_Z9sort_keysILj256ELj8EtN10test_utils4lessEEvPT1_T2_, .Lfunc_end6-_Z9sort_keysILj256ELj8EtN10test_utils4lessEEvPT1_T2_
                                        ; -- End function
	.set _Z9sort_keysILj256ELj8EtN10test_utils4lessEEvPT1_T2_.num_vgpr, 17
	.set _Z9sort_keysILj256ELj8EtN10test_utils4lessEEvPT1_T2_.num_agpr, 0
	.set _Z9sort_keysILj256ELj8EtN10test_utils4lessEEvPT1_T2_.numbered_sgpr, 7
	.set _Z9sort_keysILj256ELj8EtN10test_utils4lessEEvPT1_T2_.num_named_barrier, 0
	.set _Z9sort_keysILj256ELj8EtN10test_utils4lessEEvPT1_T2_.private_seg_size, 0
	.set _Z9sort_keysILj256ELj8EtN10test_utils4lessEEvPT1_T2_.uses_vcc, 1
	.set _Z9sort_keysILj256ELj8EtN10test_utils4lessEEvPT1_T2_.uses_flat_scratch, 0
	.set _Z9sort_keysILj256ELj8EtN10test_utils4lessEEvPT1_T2_.has_dyn_sized_stack, 0
	.set _Z9sort_keysILj256ELj8EtN10test_utils4lessEEvPT1_T2_.has_recursion, 0
	.set _Z9sort_keysILj256ELj8EtN10test_utils4lessEEvPT1_T2_.has_indirect_call, 0
	.section	.AMDGPU.csdata,"",@progbits
; Kernel info:
; codeLenInByte = 852
; TotalNumSgprs: 11
; NumVgprs: 17
; ScratchSize: 0
; MemoryBound: 0
; FloatMode: 240
; IeeeMode: 1
; LDSByteSize: 0 bytes/workgroup (compile time only)
; SGPRBlocks: 1
; VGPRBlocks: 4
; NumSGPRsForWavesPerEU: 11
; NumVGPRsForWavesPerEU: 17
; Occupancy: 10
; WaveLimiterHint : 0
; COMPUTE_PGM_RSRC2:SCRATCH_EN: 0
; COMPUTE_PGM_RSRC2:USER_SGPR: 6
; COMPUTE_PGM_RSRC2:TRAP_HANDLER: 0
; COMPUTE_PGM_RSRC2:TGID_X_EN: 1
; COMPUTE_PGM_RSRC2:TGID_Y_EN: 0
; COMPUTE_PGM_RSRC2:TGID_Z_EN: 0
; COMPUTE_PGM_RSRC2:TIDIG_COMP_CNT: 0
	.section	.text._Z9sort_keysILj256ELj7EiN10test_utils4lessEEvPT1_T2_,"axG",@progbits,_Z9sort_keysILj256ELj7EiN10test_utils4lessEEvPT1_T2_,comdat
	.protected	_Z9sort_keysILj256ELj7EiN10test_utils4lessEEvPT1_T2_ ; -- Begin function _Z9sort_keysILj256ELj7EiN10test_utils4lessEEvPT1_T2_
	.globl	_Z9sort_keysILj256ELj7EiN10test_utils4lessEEvPT1_T2_
	.p2align	8
	.type	_Z9sort_keysILj256ELj7EiN10test_utils4lessEEvPT1_T2_,@function
_Z9sort_keysILj256ELj7EiN10test_utils4lessEEvPT1_T2_: ; @_Z9sort_keysILj256ELj7EiN10test_utils4lessEEvPT1_T2_
; %bb.0:
	s_load_dwordx2 s[0:1], s[4:5], 0x0
	s_mul_i32 s2, s6, 0x700
	s_mov_b32 s3, 0
	s_lshl_b64 s[2:3], s[2:3], 2
	v_mul_u32_u24_e32 v0, 7, v0
	s_waitcnt lgkmcnt(0)
	s_add_u32 s4, s0, s2
	s_addc_u32 s5, s1, s3
	v_lshlrev_b32_e32 v7, 2, v0
	global_load_dwordx4 v[0:3], v7, s[4:5]
	global_load_dwordx3 v[4:6], v7, s[4:5] offset:16
	s_waitcnt vmcnt(1)
	v_cmp_lt_i32_e32 vcc, v1, v0
	v_max_i32_e32 v10, v1, v0
	v_cmp_lt_i32_e64 s[0:1], v3, v2
	v_min_i32_e32 v12, v3, v2
	s_waitcnt vmcnt(0)
	v_cmp_lt_i32_e64 s[2:3], v5, v4
	v_cndmask_b32_e32 v8, v0, v1, vcc
	v_min_i32_e32 v9, v1, v0
	v_cndmask_b32_e64 v11, v3, v2, s[0:1]
	v_cndmask_b32_e64 v13, v5, v4, s[2:3]
	v_cndmask_b32_e32 v0, v1, v0, vcc
	v_cndmask_b32_e64 v1, v2, v3, s[0:1]
	v_cndmask_b32_e64 v2, v4, v5, s[2:3]
	v_cmp_lt_i32_e64 s[0:1], v12, v10
	v_cmp_lt_i32_e32 vcc, v6, v13
	v_cndmask_b32_e64 v1, v1, v10, s[0:1]
	v_cndmask_b32_e64 v0, v0, v12, s[0:1]
	v_cmp_lt_i32_e64 s[0:1], v2, v11
	v_max_i32_e32 v3, v12, v10
	v_min_i32_e32 v4, v12, v10
	v_cndmask_b32_e32 v5, v6, v13, vcc
	v_cndmask_b32_e64 v10, v2, v11, s[0:1]
	v_cndmask_b32_e32 v6, v13, v6, vcc
	v_cmp_lt_i32_e32 vcc, v12, v9
	v_cndmask_b32_e32 v8, v8, v4, vcc
	v_cndmask_b32_e32 v12, v9, v4, vcc
	;; [unrolled: 1-line block ×3, first 2 shown]
	v_cndmask_b32_e64 v2, v11, v2, s[0:1]
	v_cndmask_b32_e32 v0, v0, v9, vcc
	v_cmp_lt_i32_e32 vcc, v6, v10
	v_cndmask_b32_e32 v9, v6, v10, vcc
	v_cmp_lt_i32_e64 s[0:1], v2, v3
	v_cndmask_b32_e64 v11, v2, v3, s[0:1]
	v_min_i32_e32 v3, v2, v3
	v_cndmask_b32_e32 v6, v10, v6, vcc
	v_cmp_lt_i32_e32 vcc, v5, v9
	v_cndmask_b32_e32 v10, v5, v9, vcc
	v_cndmask_b32_e64 v1, v1, v2, s[0:1]
	v_min_i32_e32 v13, v3, v4
	v_cmp_lt_i32_e64 s[0:1], v6, v11
	v_cndmask_b32_e32 v5, v9, v5, vcc
	v_cmp_lt_i32_e32 vcc, v3, v4
	v_max_i32_e32 v2, v3, v4
	v_cndmask_b32_e64 v14, v6, v11, s[0:1]
	v_cndmask_b32_e32 v1, v1, v4, vcc
	v_cndmask_b32_e32 v0, v0, v3, vcc
	v_cndmask_b32_e64 v3, v11, v6, s[0:1]
	v_cmp_lt_i32_e32 vcc, v13, v12
	v_cndmask_b32_e32 v4, v8, v13, vcc
	v_cmp_lt_i32_e64 s[0:1], v5, v14
	v_cndmask_b32_e32 v0, v0, v12, vcc
	v_cmp_lt_i32_e32 vcc, v3, v2
	v_min_i32_e32 v8, v13, v12
	v_max_i32_e32 v9, v13, v12
	v_cndmask_b32_e64 v11, v5, v14, s[0:1]
	v_cndmask_b32_e32 v12, v3, v2, vcc
	v_cndmask_b32_e64 v5, v14, v5, s[0:1]
	v_min_i32_e32 v2, v3, v2
	v_cmp_lt_i32_e64 s[0:1], v10, v11
	v_cmp_lt_i32_e64 s[2:3], v5, v12
	v_cndmask_b32_e64 v6, v10, v11, s[0:1]
	v_cndmask_b32_e32 v1, v1, v3, vcc
	v_cmp_lt_i32_e32 vcc, v2, v9
	v_max_i32_e32 v13, v2, v9
	v_cndmask_b32_e64 v10, v11, v10, s[0:1]
	v_cndmask_b32_e64 v11, v12, v5, s[2:3]
	v_cndmask_b32_e32 v3, v0, v2, vcc
	v_min_i32_e32 v0, v2, v9
	v_cndmask_b32_e64 v14, v5, v12, s[2:3]
	v_cndmask_b32_e32 v9, v1, v9, vcc
	v_cmp_lt_i32_e32 vcc, v2, v8
	v_cmp_lt_i32_e64 s[0:1], v11, v13
	v_cndmask_b32_e32 v0, v4, v0, vcc
	v_cndmask_b32_e32 v1, v3, v8, vcc
	v_cmp_lt_i32_e32 vcc, v10, v14
	v_cndmask_b32_e64 v2, v9, v11, s[0:1]
	v_cndmask_b32_e64 v3, v11, v13, s[0:1]
	v_cndmask_b32_e32 v5, v10, v14, vcc
	v_cndmask_b32_e32 v4, v14, v10, vcc
	global_store_dwordx4 v7, v[0:3], s[4:5]
	global_store_dwordx3 v7, v[4:6], s[4:5] offset:16
	s_endpgm
	.section	.rodata,"a",@progbits
	.p2align	6, 0x0
	.amdhsa_kernel _Z9sort_keysILj256ELj7EiN10test_utils4lessEEvPT1_T2_
		.amdhsa_group_segment_fixed_size 0
		.amdhsa_private_segment_fixed_size 0
		.amdhsa_kernarg_size 12
		.amdhsa_user_sgpr_count 6
		.amdhsa_user_sgpr_private_segment_buffer 1
		.amdhsa_user_sgpr_dispatch_ptr 0
		.amdhsa_user_sgpr_queue_ptr 0
		.amdhsa_user_sgpr_kernarg_segment_ptr 1
		.amdhsa_user_sgpr_dispatch_id 0
		.amdhsa_user_sgpr_flat_scratch_init 0
		.amdhsa_user_sgpr_private_segment_size 0
		.amdhsa_uses_dynamic_stack 0
		.amdhsa_system_sgpr_private_segment_wavefront_offset 0
		.amdhsa_system_sgpr_workgroup_id_x 1
		.amdhsa_system_sgpr_workgroup_id_y 0
		.amdhsa_system_sgpr_workgroup_id_z 0
		.amdhsa_system_sgpr_workgroup_info 0
		.amdhsa_system_vgpr_workitem_id 0
		.amdhsa_next_free_vgpr 15
		.amdhsa_next_free_sgpr 7
		.amdhsa_reserve_vcc 1
		.amdhsa_reserve_flat_scratch 0
		.amdhsa_float_round_mode_32 0
		.amdhsa_float_round_mode_16_64 0
		.amdhsa_float_denorm_mode_32 3
		.amdhsa_float_denorm_mode_16_64 3
		.amdhsa_dx10_clamp 1
		.amdhsa_ieee_mode 1
		.amdhsa_fp16_overflow 0
		.amdhsa_exception_fp_ieee_invalid_op 0
		.amdhsa_exception_fp_denorm_src 0
		.amdhsa_exception_fp_ieee_div_zero 0
		.amdhsa_exception_fp_ieee_overflow 0
		.amdhsa_exception_fp_ieee_underflow 0
		.amdhsa_exception_fp_ieee_inexact 0
		.amdhsa_exception_int_div_zero 0
	.end_amdhsa_kernel
	.section	.text._Z9sort_keysILj256ELj7EiN10test_utils4lessEEvPT1_T2_,"axG",@progbits,_Z9sort_keysILj256ELj7EiN10test_utils4lessEEvPT1_T2_,comdat
.Lfunc_end7:
	.size	_Z9sort_keysILj256ELj7EiN10test_utils4lessEEvPT1_T2_, .Lfunc_end7-_Z9sort_keysILj256ELj7EiN10test_utils4lessEEvPT1_T2_
                                        ; -- End function
	.set _Z9sort_keysILj256ELj7EiN10test_utils4lessEEvPT1_T2_.num_vgpr, 15
	.set _Z9sort_keysILj256ELj7EiN10test_utils4lessEEvPT1_T2_.num_agpr, 0
	.set _Z9sort_keysILj256ELj7EiN10test_utils4lessEEvPT1_T2_.numbered_sgpr, 7
	.set _Z9sort_keysILj256ELj7EiN10test_utils4lessEEvPT1_T2_.num_named_barrier, 0
	.set _Z9sort_keysILj256ELj7EiN10test_utils4lessEEvPT1_T2_.private_seg_size, 0
	.set _Z9sort_keysILj256ELj7EiN10test_utils4lessEEvPT1_T2_.uses_vcc, 1
	.set _Z9sort_keysILj256ELj7EiN10test_utils4lessEEvPT1_T2_.uses_flat_scratch, 0
	.set _Z9sort_keysILj256ELj7EiN10test_utils4lessEEvPT1_T2_.has_dyn_sized_stack, 0
	.set _Z9sort_keysILj256ELj7EiN10test_utils4lessEEvPT1_T2_.has_recursion, 0
	.set _Z9sort_keysILj256ELj7EiN10test_utils4lessEEvPT1_T2_.has_indirect_call, 0
	.section	.AMDGPU.csdata,"",@progbits
; Kernel info:
; codeLenInByte = 520
; TotalNumSgprs: 11
; NumVgprs: 15
; ScratchSize: 0
; MemoryBound: 0
; FloatMode: 240
; IeeeMode: 1
; LDSByteSize: 0 bytes/workgroup (compile time only)
; SGPRBlocks: 1
; VGPRBlocks: 3
; NumSGPRsForWavesPerEU: 11
; NumVGPRsForWavesPerEU: 15
; Occupancy: 10
; WaveLimiterHint : 0
; COMPUTE_PGM_RSRC2:SCRATCH_EN: 0
; COMPUTE_PGM_RSRC2:USER_SGPR: 6
; COMPUTE_PGM_RSRC2:TRAP_HANDLER: 0
; COMPUTE_PGM_RSRC2:TGID_X_EN: 1
; COMPUTE_PGM_RSRC2:TGID_Y_EN: 0
; COMPUTE_PGM_RSRC2:TGID_Z_EN: 0
; COMPUTE_PGM_RSRC2:TIDIG_COMP_CNT: 0
	.section	.text._Z9sort_keysILj256ELj6EfN10test_utils7greaterEEvPT1_T2_,"axG",@progbits,_Z9sort_keysILj256ELj6EfN10test_utils7greaterEEvPT1_T2_,comdat
	.protected	_Z9sort_keysILj256ELj6EfN10test_utils7greaterEEvPT1_T2_ ; -- Begin function _Z9sort_keysILj256ELj6EfN10test_utils7greaterEEvPT1_T2_
	.globl	_Z9sort_keysILj256ELj6EfN10test_utils7greaterEEvPT1_T2_
	.p2align	8
	.type	_Z9sort_keysILj256ELj6EfN10test_utils7greaterEEvPT1_T2_,@function
_Z9sort_keysILj256ELj6EfN10test_utils7greaterEEvPT1_T2_: ; @_Z9sort_keysILj256ELj6EfN10test_utils7greaterEEvPT1_T2_
; %bb.0:
	s_load_dwordx2 s[0:1], s[4:5], 0x0
	s_mul_i32 s2, s6, 0x600
	s_mov_b32 s3, 0
	s_lshl_b64 s[2:3], s[2:3], 2
	v_mul_u32_u24_e32 v0, 6, v0
	s_waitcnt lgkmcnt(0)
	s_add_u32 s4, s0, s2
	s_addc_u32 s5, s1, s3
	v_lshlrev_b32_e32 v6, 2, v0
	global_load_dwordx4 v[0:3], v6, s[4:5]
	global_load_dwordx2 v[4:5], v6, s[4:5] offset:16
	s_waitcnt vmcnt(1)
	v_cmp_gt_f32_e32 vcc, v1, v0
	v_cmp_gt_f32_e64 s[0:1], v3, v2
	s_waitcnt vmcnt(0)
	v_cmp_gt_f32_e64 s[2:3], v5, v4
	v_cndmask_b32_e32 v7, v0, v1, vcc
	v_cndmask_b32_e64 v8, v3, v2, s[0:1]
	v_cndmask_b32_e32 v0, v1, v0, vcc
	v_cndmask_b32_e64 v1, v2, v3, s[0:1]
	v_cndmask_b32_e64 v2, v4, v5, s[2:3]
	v_cmp_gt_f32_e32 vcc, v1, v0
	v_cmp_gt_f32_e64 s[0:1], v2, v8
	v_cndmask_b32_e64 v9, v5, v4, s[2:3]
	v_cndmask_b32_e32 v3, v1, v0, vcc
	v_cndmask_b32_e64 v4, v2, v8, s[0:1]
	v_cndmask_b32_e32 v0, v0, v1, vcc
	v_cndmask_b32_e64 v1, v8, v2, s[0:1]
	v_cmp_gt_f32_e32 vcc, v9, v4
	v_cmp_gt_f32_e64 s[2:3], v1, v3
	v_cndmask_b32_e32 v2, v9, v4, vcc
	v_cmp_gt_f32_e64 s[0:1], v0, v7
	v_cndmask_b32_e64 v5, v1, v3, s[2:3]
	v_cndmask_b32_e32 v4, v4, v9, vcc
	v_cndmask_b32_e64 v8, v7, v0, s[0:1]
	v_cndmask_b32_e64 v0, v0, v7, s[0:1]
	;; [unrolled: 1-line block ×3, first 2 shown]
	v_cmp_gt_f32_e32 vcc, v4, v5
	v_cndmask_b32_e32 v3, v4, v5, vcc
	v_cmp_gt_f32_e64 s[0:1], v1, v0
	v_cndmask_b32_e64 v7, v1, v0, s[0:1]
	v_cndmask_b32_e32 v4, v5, v4, vcc
	v_cmp_gt_f32_e32 vcc, v2, v3
	v_cndmask_b32_e64 v1, v0, v1, s[0:1]
	v_cndmask_b32_e32 v5, v2, v3, vcc
	v_cmp_gt_f32_e64 s[0:1], v4, v7
	v_cndmask_b32_e32 v2, v3, v2, vcc
	v_cmp_gt_f32_e32 vcc, v1, v8
	v_cndmask_b32_e64 v9, v4, v7, s[0:1]
	v_cndmask_b32_e32 v0, v8, v1, vcc
	v_cndmask_b32_e64 v7, v7, v4, s[0:1]
	v_cndmask_b32_e32 v1, v1, v8, vcc
	v_cmp_gt_f32_e64 s[0:1], v2, v9
	v_cmp_gt_f32_e32 vcc, v7, v1
	v_cndmask_b32_e64 v4, v2, v9, s[0:1]
	v_cndmask_b32_e64 v3, v9, v2, s[0:1]
	v_cndmask_b32_e32 v2, v7, v1, vcc
	v_cndmask_b32_e32 v1, v1, v7, vcc
	global_store_dwordx4 v6, v[0:3], s[4:5]
	global_store_dwordx2 v6, v[4:5], s[4:5] offset:16
	s_endpgm
	.section	.rodata,"a",@progbits
	.p2align	6, 0x0
	.amdhsa_kernel _Z9sort_keysILj256ELj6EfN10test_utils7greaterEEvPT1_T2_
		.amdhsa_group_segment_fixed_size 0
		.amdhsa_private_segment_fixed_size 0
		.amdhsa_kernarg_size 12
		.amdhsa_user_sgpr_count 6
		.amdhsa_user_sgpr_private_segment_buffer 1
		.amdhsa_user_sgpr_dispatch_ptr 0
		.amdhsa_user_sgpr_queue_ptr 0
		.amdhsa_user_sgpr_kernarg_segment_ptr 1
		.amdhsa_user_sgpr_dispatch_id 0
		.amdhsa_user_sgpr_flat_scratch_init 0
		.amdhsa_user_sgpr_private_segment_size 0
		.amdhsa_uses_dynamic_stack 0
		.amdhsa_system_sgpr_private_segment_wavefront_offset 0
		.amdhsa_system_sgpr_workgroup_id_x 1
		.amdhsa_system_sgpr_workgroup_id_y 0
		.amdhsa_system_sgpr_workgroup_id_z 0
		.amdhsa_system_sgpr_workgroup_info 0
		.amdhsa_system_vgpr_workitem_id 0
		.amdhsa_next_free_vgpr 10
		.amdhsa_next_free_sgpr 7
		.amdhsa_reserve_vcc 1
		.amdhsa_reserve_flat_scratch 0
		.amdhsa_float_round_mode_32 0
		.amdhsa_float_round_mode_16_64 0
		.amdhsa_float_denorm_mode_32 3
		.amdhsa_float_denorm_mode_16_64 3
		.amdhsa_dx10_clamp 1
		.amdhsa_ieee_mode 1
		.amdhsa_fp16_overflow 0
		.amdhsa_exception_fp_ieee_invalid_op 0
		.amdhsa_exception_fp_denorm_src 0
		.amdhsa_exception_fp_ieee_div_zero 0
		.amdhsa_exception_fp_ieee_overflow 0
		.amdhsa_exception_fp_ieee_underflow 0
		.amdhsa_exception_fp_ieee_inexact 0
		.amdhsa_exception_int_div_zero 0
	.end_amdhsa_kernel
	.section	.text._Z9sort_keysILj256ELj6EfN10test_utils7greaterEEvPT1_T2_,"axG",@progbits,_Z9sort_keysILj256ELj6EfN10test_utils7greaterEEvPT1_T2_,comdat
.Lfunc_end8:
	.size	_Z9sort_keysILj256ELj6EfN10test_utils7greaterEEvPT1_T2_, .Lfunc_end8-_Z9sort_keysILj256ELj6EfN10test_utils7greaterEEvPT1_T2_
                                        ; -- End function
	.set _Z9sort_keysILj256ELj6EfN10test_utils7greaterEEvPT1_T2_.num_vgpr, 10
	.set _Z9sort_keysILj256ELj6EfN10test_utils7greaterEEvPT1_T2_.num_agpr, 0
	.set _Z9sort_keysILj256ELj6EfN10test_utils7greaterEEvPT1_T2_.numbered_sgpr, 7
	.set _Z9sort_keysILj256ELj6EfN10test_utils7greaterEEvPT1_T2_.num_named_barrier, 0
	.set _Z9sort_keysILj256ELj6EfN10test_utils7greaterEEvPT1_T2_.private_seg_size, 0
	.set _Z9sort_keysILj256ELj6EfN10test_utils7greaterEEvPT1_T2_.uses_vcc, 1
	.set _Z9sort_keysILj256ELj6EfN10test_utils7greaterEEvPT1_T2_.uses_flat_scratch, 0
	.set _Z9sort_keysILj256ELj6EfN10test_utils7greaterEEvPT1_T2_.has_dyn_sized_stack, 0
	.set _Z9sort_keysILj256ELj6EfN10test_utils7greaterEEvPT1_T2_.has_recursion, 0
	.set _Z9sort_keysILj256ELj6EfN10test_utils7greaterEEvPT1_T2_.has_indirect_call, 0
	.section	.AMDGPU.csdata,"",@progbits
; Kernel info:
; codeLenInByte = 364
; TotalNumSgprs: 11
; NumVgprs: 10
; ScratchSize: 0
; MemoryBound: 0
; FloatMode: 240
; IeeeMode: 1
; LDSByteSize: 0 bytes/workgroup (compile time only)
; SGPRBlocks: 1
; VGPRBlocks: 2
; NumSGPRsForWavesPerEU: 11
; NumVGPRsForWavesPerEU: 10
; Occupancy: 10
; WaveLimiterHint : 0
; COMPUTE_PGM_RSRC2:SCRATCH_EN: 0
; COMPUTE_PGM_RSRC2:USER_SGPR: 6
; COMPUTE_PGM_RSRC2:TRAP_HANDLER: 0
; COMPUTE_PGM_RSRC2:TGID_X_EN: 1
; COMPUTE_PGM_RSRC2:TGID_Y_EN: 0
; COMPUTE_PGM_RSRC2:TGID_Z_EN: 0
; COMPUTE_PGM_RSRC2:TIDIG_COMP_CNT: 0
	.section	.text._Z9sort_keysILj256ELj5EtN10test_utils4lessEEvPT1_T2_,"axG",@progbits,_Z9sort_keysILj256ELj5EtN10test_utils4lessEEvPT1_T2_,comdat
	.protected	_Z9sort_keysILj256ELj5EtN10test_utils4lessEEvPT1_T2_ ; -- Begin function _Z9sort_keysILj256ELj5EtN10test_utils4lessEEvPT1_T2_
	.globl	_Z9sort_keysILj256ELj5EtN10test_utils4lessEEvPT1_T2_
	.p2align	8
	.type	_Z9sort_keysILj256ELj5EtN10test_utils4lessEEvPT1_T2_,@function
_Z9sort_keysILj256ELj5EtN10test_utils4lessEEvPT1_T2_: ; @_Z9sort_keysILj256ELj5EtN10test_utils4lessEEvPT1_T2_
; %bb.0:
	s_load_dwordx2 s[0:1], s[4:5], 0x0
	s_mul_i32 s2, s6, 0x500
	s_mov_b32 s3, 0
	s_lshl_b64 s[2:3], s[2:3], 1
	v_mul_u32_u24_e32 v0, 5, v0
	s_waitcnt lgkmcnt(0)
	s_add_u32 s0, s0, s2
	s_addc_u32 s1, s1, s3
	v_lshlrev_b32_e32 v2, 1, v0
	global_load_ushort v3, v2, s[0:1] offset:8
	global_load_dwordx2 v[0:1], v2, s[0:1]
	s_mov_b32 s2, 0xffff
	s_mov_b32 s3, 0x5040100
	s_waitcnt vmcnt(0)
	v_alignbit_b32 v5, v0, v0, 16
	v_cmp_lt_u16_sdwa vcc, v0, v0 src0_sel:WORD_1 src1_sel:DWORD
	v_bfi_b32 v4, s2, v3, v0
	v_min_u16_sdwa v6, v0, v0 dst_sel:DWORD dst_unused:UNUSED_PAD src0_sel:WORD_1 src1_sel:DWORD
	v_max_u16_sdwa v7, v0, v0 dst_sel:DWORD dst_unused:UNUSED_PAD src0_sel:WORD_1 src1_sel:DWORD
	v_alignbit_b32 v8, v1, v1, 16
	v_cndmask_b32_e32 v0, v0, v5, vcc
	v_cmp_lt_u16_sdwa vcc, v1, v1 src0_sel:WORD_1 src1_sel:DWORD
	v_min_u16_sdwa v9, v1, v1 dst_sel:DWORD dst_unused:UNUSED_PAD src0_sel:WORD_1 src1_sel:DWORD
	v_cndmask_b32_e32 v1, v1, v8, vcc
	v_min_u16_e32 v8, v9, v7
	v_perm_b32 v10, v9, v0, s3
	v_bfi_b32 v11, s2, v7, v1
	v_cmp_lt_u16_e32 vcc, v9, v7
	v_perm_b32 v12, v6, v8, s3
	v_cndmask_b32_e32 v0, v0, v10, vcc
	v_cndmask_b32_e32 v1, v1, v11, vcc
	v_cmp_lt_u16_e32 vcc, v9, v6
	v_max_u16_e32 v5, v9, v7
	v_perm_b32 v10, v3, v1, s3
	v_cndmask_b32_e32 v0, v0, v12, vcc
	v_cndmask_b32_e32 v9, v6, v8, vcc
	v_cndmask_b32_e32 v6, v8, v6, vcc
	v_cmp_lt_u16_sdwa vcc, v3, v1 src0_sel:DWORD src1_sel:WORD_1
	v_alignbit_b32 v7, s0, v1, 16
	v_cndmask_b32_e32 v1, v1, v10, vcc
	v_cndmask_b32_e32 v3, v4, v7, vcc
	v_alignbit_b32 v4, v5, v1, 16
	v_cmp_lt_u16_sdwa vcc, v1, v5 src0_sel:WORD_1 src1_sel:DWORD
	v_min_u16_sdwa v7, v1, v5 dst_sel:DWORD dst_unused:UNUSED_PAD src0_sel:WORD_1 src1_sel:DWORD
	v_cndmask_b32_e32 v1, v1, v4, vcc
	v_perm_b32 v4, v7, v0, s3
	v_min_u16_e32 v8, v7, v6
	v_bfi_b32 v10, s2, v6, v1
	v_cmp_lt_u16_e32 vcc, v7, v6
	v_perm_b32 v11, v9, v8, s3
	v_cndmask_b32_e32 v1, v1, v10, vcc
	v_cndmask_b32_e32 v0, v0, v4, vcc
	v_cmp_lt_u16_e32 vcc, v8, v9
	v_max_u16_e32 v5, v7, v6
	v_perm_b32 v6, v3, v1, s3
	v_cndmask_b32_e32 v0, v0, v11, vcc
	v_cmp_lt_u16_sdwa vcc, v3, v1 src0_sel:DWORD src1_sel:WORD_1
	v_alignbit_b32 v4, s0, v1, 16
	v_cndmask_b32_e32 v1, v1, v6, vcc
	v_cndmask_b32_e32 v3, v3, v4, vcc
	v_alignbit_b32 v4, v5, v1, 16
	v_cmp_lt_u16_sdwa vcc, v1, v5 src0_sel:WORD_1 src1_sel:DWORD
	v_cndmask_b32_e32 v1, v1, v4, vcc
	global_store_short v2, v3, s[0:1] offset:8
	global_store_dwordx2 v2, v[0:1], s[0:1]
	s_endpgm
	.section	.rodata,"a",@progbits
	.p2align	6, 0x0
	.amdhsa_kernel _Z9sort_keysILj256ELj5EtN10test_utils4lessEEvPT1_T2_
		.amdhsa_group_segment_fixed_size 0
		.amdhsa_private_segment_fixed_size 0
		.amdhsa_kernarg_size 12
		.amdhsa_user_sgpr_count 6
		.amdhsa_user_sgpr_private_segment_buffer 1
		.amdhsa_user_sgpr_dispatch_ptr 0
		.amdhsa_user_sgpr_queue_ptr 0
		.amdhsa_user_sgpr_kernarg_segment_ptr 1
		.amdhsa_user_sgpr_dispatch_id 0
		.amdhsa_user_sgpr_flat_scratch_init 0
		.amdhsa_user_sgpr_private_segment_size 0
		.amdhsa_uses_dynamic_stack 0
		.amdhsa_system_sgpr_private_segment_wavefront_offset 0
		.amdhsa_system_sgpr_workgroup_id_x 1
		.amdhsa_system_sgpr_workgroup_id_y 0
		.amdhsa_system_sgpr_workgroup_id_z 0
		.amdhsa_system_sgpr_workgroup_info 0
		.amdhsa_system_vgpr_workitem_id 0
		.amdhsa_next_free_vgpr 13
		.amdhsa_next_free_sgpr 7
		.amdhsa_reserve_vcc 1
		.amdhsa_reserve_flat_scratch 0
		.amdhsa_float_round_mode_32 0
		.amdhsa_float_round_mode_16_64 0
		.amdhsa_float_denorm_mode_32 3
		.amdhsa_float_denorm_mode_16_64 3
		.amdhsa_dx10_clamp 1
		.amdhsa_ieee_mode 1
		.amdhsa_fp16_overflow 0
		.amdhsa_exception_fp_ieee_invalid_op 0
		.amdhsa_exception_fp_denorm_src 0
		.amdhsa_exception_fp_ieee_div_zero 0
		.amdhsa_exception_fp_ieee_overflow 0
		.amdhsa_exception_fp_ieee_underflow 0
		.amdhsa_exception_fp_ieee_inexact 0
		.amdhsa_exception_int_div_zero 0
	.end_amdhsa_kernel
	.section	.text._Z9sort_keysILj256ELj5EtN10test_utils4lessEEvPT1_T2_,"axG",@progbits,_Z9sort_keysILj256ELj5EtN10test_utils4lessEEvPT1_T2_,comdat
.Lfunc_end9:
	.size	_Z9sort_keysILj256ELj5EtN10test_utils4lessEEvPT1_T2_, .Lfunc_end9-_Z9sort_keysILj256ELj5EtN10test_utils4lessEEvPT1_T2_
                                        ; -- End function
	.set _Z9sort_keysILj256ELj5EtN10test_utils4lessEEvPT1_T2_.num_vgpr, 13
	.set _Z9sort_keysILj256ELj5EtN10test_utils4lessEEvPT1_T2_.num_agpr, 0
	.set _Z9sort_keysILj256ELj5EtN10test_utils4lessEEvPT1_T2_.numbered_sgpr, 7
	.set _Z9sort_keysILj256ELj5EtN10test_utils4lessEEvPT1_T2_.num_named_barrier, 0
	.set _Z9sort_keysILj256ELj5EtN10test_utils4lessEEvPT1_T2_.private_seg_size, 0
	.set _Z9sort_keysILj256ELj5EtN10test_utils4lessEEvPT1_T2_.uses_vcc, 1
	.set _Z9sort_keysILj256ELj5EtN10test_utils4lessEEvPT1_T2_.uses_flat_scratch, 0
	.set _Z9sort_keysILj256ELj5EtN10test_utils4lessEEvPT1_T2_.has_dyn_sized_stack, 0
	.set _Z9sort_keysILj256ELj5EtN10test_utils4lessEEvPT1_T2_.has_recursion, 0
	.set _Z9sort_keysILj256ELj5EtN10test_utils4lessEEvPT1_T2_.has_indirect_call, 0
	.section	.AMDGPU.csdata,"",@progbits
; Kernel info:
; codeLenInByte = 396
; TotalNumSgprs: 11
; NumVgprs: 13
; ScratchSize: 0
; MemoryBound: 0
; FloatMode: 240
; IeeeMode: 1
; LDSByteSize: 0 bytes/workgroup (compile time only)
; SGPRBlocks: 1
; VGPRBlocks: 3
; NumSGPRsForWavesPerEU: 11
; NumVGPRsForWavesPerEU: 13
; Occupancy: 10
; WaveLimiterHint : 0
; COMPUTE_PGM_RSRC2:SCRATCH_EN: 0
; COMPUTE_PGM_RSRC2:USER_SGPR: 6
; COMPUTE_PGM_RSRC2:TRAP_HANDLER: 0
; COMPUTE_PGM_RSRC2:TGID_X_EN: 1
; COMPUTE_PGM_RSRC2:TGID_Y_EN: 0
; COMPUTE_PGM_RSRC2:TGID_Z_EN: 0
; COMPUTE_PGM_RSRC2:TIDIG_COMP_CNT: 0
	.section	.text._Z9sort_keysILj256ELj4EjN10test_utils4lessEEvPT1_T2_,"axG",@progbits,_Z9sort_keysILj256ELj4EjN10test_utils4lessEEvPT1_T2_,comdat
	.protected	_Z9sort_keysILj256ELj4EjN10test_utils4lessEEvPT1_T2_ ; -- Begin function _Z9sort_keysILj256ELj4EjN10test_utils4lessEEvPT1_T2_
	.globl	_Z9sort_keysILj256ELj4EjN10test_utils4lessEEvPT1_T2_
	.p2align	8
	.type	_Z9sort_keysILj256ELj4EjN10test_utils4lessEEvPT1_T2_,@function
_Z9sort_keysILj256ELj4EjN10test_utils4lessEEvPT1_T2_: ; @_Z9sort_keysILj256ELj4EjN10test_utils4lessEEvPT1_T2_
; %bb.0:
	s_load_dwordx2 s[0:1], s[4:5], 0x0
	s_lshl_b32 s2, s6, 10
	s_mov_b32 s3, 0
	s_lshl_b64 s[2:3], s[2:3], 2
	v_lshlrev_b32_e32 v4, 4, v0
	s_waitcnt lgkmcnt(0)
	s_add_u32 s2, s0, s2
	s_addc_u32 s3, s1, s3
	global_load_dwordx4 v[0:3], v4, s[2:3]
	s_waitcnt vmcnt(0)
	v_cmp_lt_u32_e32 vcc, v1, v0
	v_max_u32_e32 v7, v1, v0
	v_cmp_lt_u32_e64 s[0:1], v3, v2
	v_min_u32_e32 v10, v3, v2
	v_cndmask_b32_e32 v5, v0, v1, vcc
	v_min_u32_e32 v6, v1, v0
	v_max_u32_e32 v9, v3, v2
	v_cndmask_b32_e32 v0, v1, v0, vcc
	v_cndmask_b32_e64 v1, v2, v3, s[0:1]
	v_cmp_lt_u32_e32 vcc, v10, v7
	v_cndmask_b32_e64 v8, v3, v2, s[0:1]
	v_max_u32_e32 v2, v10, v7
	v_min_u32_e32 v3, v10, v7
	v_cndmask_b32_e32 v1, v1, v7, vcc
	v_cndmask_b32_e32 v11, v0, v10, vcc
	v_cmp_lt_u32_e32 vcc, v10, v6
	v_cmp_gt_u32_e64 s[0:1], v7, v9
	v_cndmask_b32_e32 v0, v5, v3, vcc
	v_cndmask_b32_e32 v5, v3, v6, vcc
	v_cndmask_b32_e64 v7, v2, v9, s[0:1]
	v_cndmask_b32_e32 v6, v11, v6, vcc
	v_cndmask_b32_e64 v1, v1, v9, s[0:1]
	v_cmp_lt_u32_e32 vcc, v7, v5
	v_cndmask_b32_e64 v3, v8, v2, s[0:1]
	v_cndmask_b32_e32 v2, v1, v5, vcc
	v_cndmask_b32_e32 v1, v6, v7, vcc
	global_store_dwordx4 v4, v[0:3], s[2:3]
	s_endpgm
	.section	.rodata,"a",@progbits
	.p2align	6, 0x0
	.amdhsa_kernel _Z9sort_keysILj256ELj4EjN10test_utils4lessEEvPT1_T2_
		.amdhsa_group_segment_fixed_size 0
		.amdhsa_private_segment_fixed_size 0
		.amdhsa_kernarg_size 12
		.amdhsa_user_sgpr_count 6
		.amdhsa_user_sgpr_private_segment_buffer 1
		.amdhsa_user_sgpr_dispatch_ptr 0
		.amdhsa_user_sgpr_queue_ptr 0
		.amdhsa_user_sgpr_kernarg_segment_ptr 1
		.amdhsa_user_sgpr_dispatch_id 0
		.amdhsa_user_sgpr_flat_scratch_init 0
		.amdhsa_user_sgpr_private_segment_size 0
		.amdhsa_uses_dynamic_stack 0
		.amdhsa_system_sgpr_private_segment_wavefront_offset 0
		.amdhsa_system_sgpr_workgroup_id_x 1
		.amdhsa_system_sgpr_workgroup_id_y 0
		.amdhsa_system_sgpr_workgroup_id_z 0
		.amdhsa_system_sgpr_workgroup_info 0
		.amdhsa_system_vgpr_workitem_id 0
		.amdhsa_next_free_vgpr 12
		.amdhsa_next_free_sgpr 7
		.amdhsa_reserve_vcc 1
		.amdhsa_reserve_flat_scratch 0
		.amdhsa_float_round_mode_32 0
		.amdhsa_float_round_mode_16_64 0
		.amdhsa_float_denorm_mode_32 3
		.amdhsa_float_denorm_mode_16_64 3
		.amdhsa_dx10_clamp 1
		.amdhsa_ieee_mode 1
		.amdhsa_fp16_overflow 0
		.amdhsa_exception_fp_ieee_invalid_op 0
		.amdhsa_exception_fp_denorm_src 0
		.amdhsa_exception_fp_ieee_div_zero 0
		.amdhsa_exception_fp_ieee_overflow 0
		.amdhsa_exception_fp_ieee_underflow 0
		.amdhsa_exception_fp_ieee_inexact 0
		.amdhsa_exception_int_div_zero 0
	.end_amdhsa_kernel
	.section	.text._Z9sort_keysILj256ELj4EjN10test_utils4lessEEvPT1_T2_,"axG",@progbits,_Z9sort_keysILj256ELj4EjN10test_utils4lessEEvPT1_T2_,comdat
.Lfunc_end10:
	.size	_Z9sort_keysILj256ELj4EjN10test_utils4lessEEvPT1_T2_, .Lfunc_end10-_Z9sort_keysILj256ELj4EjN10test_utils4lessEEvPT1_T2_
                                        ; -- End function
	.set _Z9sort_keysILj256ELj4EjN10test_utils4lessEEvPT1_T2_.num_vgpr, 12
	.set _Z9sort_keysILj256ELj4EjN10test_utils4lessEEvPT1_T2_.num_agpr, 0
	.set _Z9sort_keysILj256ELj4EjN10test_utils4lessEEvPT1_T2_.numbered_sgpr, 7
	.set _Z9sort_keysILj256ELj4EjN10test_utils4lessEEvPT1_T2_.num_named_barrier, 0
	.set _Z9sort_keysILj256ELj4EjN10test_utils4lessEEvPT1_T2_.private_seg_size, 0
	.set _Z9sort_keysILj256ELj4EjN10test_utils4lessEEvPT1_T2_.uses_vcc, 1
	.set _Z9sort_keysILj256ELj4EjN10test_utils4lessEEvPT1_T2_.uses_flat_scratch, 0
	.set _Z9sort_keysILj256ELj4EjN10test_utils4lessEEvPT1_T2_.has_dyn_sized_stack, 0
	.set _Z9sort_keysILj256ELj4EjN10test_utils4lessEEvPT1_T2_.has_recursion, 0
	.set _Z9sort_keysILj256ELj4EjN10test_utils4lessEEvPT1_T2_.has_indirect_call, 0
	.section	.AMDGPU.csdata,"",@progbits
; Kernel info:
; codeLenInByte = 192
; TotalNumSgprs: 11
; NumVgprs: 12
; ScratchSize: 0
; MemoryBound: 0
; FloatMode: 240
; IeeeMode: 1
; LDSByteSize: 0 bytes/workgroup (compile time only)
; SGPRBlocks: 1
; VGPRBlocks: 2
; NumSGPRsForWavesPerEU: 11
; NumVGPRsForWavesPerEU: 12
; Occupancy: 10
; WaveLimiterHint : 0
; COMPUTE_PGM_RSRC2:SCRATCH_EN: 0
; COMPUTE_PGM_RSRC2:USER_SGPR: 6
; COMPUTE_PGM_RSRC2:TRAP_HANDLER: 0
; COMPUTE_PGM_RSRC2:TGID_X_EN: 1
; COMPUTE_PGM_RSRC2:TGID_Y_EN: 0
; COMPUTE_PGM_RSRC2:TGID_Z_EN: 0
; COMPUTE_PGM_RSRC2:TIDIG_COMP_CNT: 0
	.section	.text._Z9sort_keysILj256ELj3EiN10test_utils4lessEEvPT1_T2_,"axG",@progbits,_Z9sort_keysILj256ELj3EiN10test_utils4lessEEvPT1_T2_,comdat
	.protected	_Z9sort_keysILj256ELj3EiN10test_utils4lessEEvPT1_T2_ ; -- Begin function _Z9sort_keysILj256ELj3EiN10test_utils4lessEEvPT1_T2_
	.globl	_Z9sort_keysILj256ELj3EiN10test_utils4lessEEvPT1_T2_
	.p2align	8
	.type	_Z9sort_keysILj256ELj3EiN10test_utils4lessEEvPT1_T2_,@function
_Z9sort_keysILj256ELj3EiN10test_utils4lessEEvPT1_T2_: ; @_Z9sort_keysILj256ELj3EiN10test_utils4lessEEvPT1_T2_
; %bb.0:
	s_load_dwordx2 s[0:1], s[4:5], 0x0
	s_mul_i32 s2, s6, 0x300
	s_mov_b32 s3, 0
	s_lshl_b64 s[2:3], s[2:3], 2
	v_mul_u32_u24_e32 v0, 3, v0
	s_waitcnt lgkmcnt(0)
	s_add_u32 s0, s0, s2
	s_addc_u32 s1, s1, s3
	v_lshlrev_b32_e32 v4, 2, v0
	global_load_dwordx3 v[0:2], v4, s[0:1]
	s_waitcnt vmcnt(0)
	v_cmp_lt_i32_e32 vcc, v1, v0
	v_max_i32_e32 v7, v1, v0
	v_cndmask_b32_e32 v5, v0, v1, vcc
	v_min_i32_e32 v6, v1, v0
	v_cndmask_b32_e32 v0, v1, v0, vcc
	v_cmp_lt_i32_e32 vcc, v2, v7
	v_cndmask_b32_e32 v3, v2, v7, vcc
	v_min_i32_e32 v1, v2, v7
	v_cndmask_b32_e32 v0, v0, v2, vcc
	v_cmp_lt_i32_e32 vcc, v2, v6
	v_cndmask_b32_e32 v1, v5, v1, vcc
	v_cndmask_b32_e32 v2, v0, v6, vcc
	global_store_dwordx3 v4, v[1:3], s[0:1]
	s_endpgm
	.section	.rodata,"a",@progbits
	.p2align	6, 0x0
	.amdhsa_kernel _Z9sort_keysILj256ELj3EiN10test_utils4lessEEvPT1_T2_
		.amdhsa_group_segment_fixed_size 0
		.amdhsa_private_segment_fixed_size 0
		.amdhsa_kernarg_size 12
		.amdhsa_user_sgpr_count 6
		.amdhsa_user_sgpr_private_segment_buffer 1
		.amdhsa_user_sgpr_dispatch_ptr 0
		.amdhsa_user_sgpr_queue_ptr 0
		.amdhsa_user_sgpr_kernarg_segment_ptr 1
		.amdhsa_user_sgpr_dispatch_id 0
		.amdhsa_user_sgpr_flat_scratch_init 0
		.amdhsa_user_sgpr_private_segment_size 0
		.amdhsa_uses_dynamic_stack 0
		.amdhsa_system_sgpr_private_segment_wavefront_offset 0
		.amdhsa_system_sgpr_workgroup_id_x 1
		.amdhsa_system_sgpr_workgroup_id_y 0
		.amdhsa_system_sgpr_workgroup_id_z 0
		.amdhsa_system_sgpr_workgroup_info 0
		.amdhsa_system_vgpr_workitem_id 0
		.amdhsa_next_free_vgpr 8
		.amdhsa_next_free_sgpr 7
		.amdhsa_reserve_vcc 1
		.amdhsa_reserve_flat_scratch 0
		.amdhsa_float_round_mode_32 0
		.amdhsa_float_round_mode_16_64 0
		.amdhsa_float_denorm_mode_32 3
		.amdhsa_float_denorm_mode_16_64 3
		.amdhsa_dx10_clamp 1
		.amdhsa_ieee_mode 1
		.amdhsa_fp16_overflow 0
		.amdhsa_exception_fp_ieee_invalid_op 0
		.amdhsa_exception_fp_denorm_src 0
		.amdhsa_exception_fp_ieee_div_zero 0
		.amdhsa_exception_fp_ieee_overflow 0
		.amdhsa_exception_fp_ieee_underflow 0
		.amdhsa_exception_fp_ieee_inexact 0
		.amdhsa_exception_int_div_zero 0
	.end_amdhsa_kernel
	.section	.text._Z9sort_keysILj256ELj3EiN10test_utils4lessEEvPT1_T2_,"axG",@progbits,_Z9sort_keysILj256ELj3EiN10test_utils4lessEEvPT1_T2_,comdat
.Lfunc_end11:
	.size	_Z9sort_keysILj256ELj3EiN10test_utils4lessEEvPT1_T2_, .Lfunc_end11-_Z9sort_keysILj256ELj3EiN10test_utils4lessEEvPT1_T2_
                                        ; -- End function
	.set _Z9sort_keysILj256ELj3EiN10test_utils4lessEEvPT1_T2_.num_vgpr, 8
	.set _Z9sort_keysILj256ELj3EiN10test_utils4lessEEvPT1_T2_.num_agpr, 0
	.set _Z9sort_keysILj256ELj3EiN10test_utils4lessEEvPT1_T2_.numbered_sgpr, 7
	.set _Z9sort_keysILj256ELj3EiN10test_utils4lessEEvPT1_T2_.num_named_barrier, 0
	.set _Z9sort_keysILj256ELj3EiN10test_utils4lessEEvPT1_T2_.private_seg_size, 0
	.set _Z9sort_keysILj256ELj3EiN10test_utils4lessEEvPT1_T2_.uses_vcc, 1
	.set _Z9sort_keysILj256ELj3EiN10test_utils4lessEEvPT1_T2_.uses_flat_scratch, 0
	.set _Z9sort_keysILj256ELj3EiN10test_utils4lessEEvPT1_T2_.has_dyn_sized_stack, 0
	.set _Z9sort_keysILj256ELj3EiN10test_utils4lessEEvPT1_T2_.has_recursion, 0
	.set _Z9sort_keysILj256ELj3EiN10test_utils4lessEEvPT1_T2_.has_indirect_call, 0
	.section	.AMDGPU.csdata,"",@progbits
; Kernel info:
; codeLenInByte = 116
; TotalNumSgprs: 11
; NumVgprs: 8
; ScratchSize: 0
; MemoryBound: 0
; FloatMode: 240
; IeeeMode: 1
; LDSByteSize: 0 bytes/workgroup (compile time only)
; SGPRBlocks: 1
; VGPRBlocks: 1
; NumSGPRsForWavesPerEU: 11
; NumVGPRsForWavesPerEU: 8
; Occupancy: 10
; WaveLimiterHint : 0
; COMPUTE_PGM_RSRC2:SCRATCH_EN: 0
; COMPUTE_PGM_RSRC2:USER_SGPR: 6
; COMPUTE_PGM_RSRC2:TRAP_HANDLER: 0
; COMPUTE_PGM_RSRC2:TGID_X_EN: 1
; COMPUTE_PGM_RSRC2:TGID_Y_EN: 0
; COMPUTE_PGM_RSRC2:TGID_Z_EN: 0
; COMPUTE_PGM_RSRC2:TIDIG_COMP_CNT: 0
	.section	.text._Z9sort_keysILj256ELj2EjN10test_utils4lessEEvPT1_T2_,"axG",@progbits,_Z9sort_keysILj256ELj2EjN10test_utils4lessEEvPT1_T2_,comdat
	.protected	_Z9sort_keysILj256ELj2EjN10test_utils4lessEEvPT1_T2_ ; -- Begin function _Z9sort_keysILj256ELj2EjN10test_utils4lessEEvPT1_T2_
	.globl	_Z9sort_keysILj256ELj2EjN10test_utils4lessEEvPT1_T2_
	.p2align	8
	.type	_Z9sort_keysILj256ELj2EjN10test_utils4lessEEvPT1_T2_,@function
_Z9sort_keysILj256ELj2EjN10test_utils4lessEEvPT1_T2_: ; @_Z9sort_keysILj256ELj2EjN10test_utils4lessEEvPT1_T2_
; %bb.0:
	s_load_dwordx2 s[0:1], s[4:5], 0x0
	s_lshl_b32 s2, s6, 9
	s_mov_b32 s3, 0
	s_lshl_b64 s[2:3], s[2:3], 2
	v_lshlrev_b32_e32 v3, 3, v0
	s_waitcnt lgkmcnt(0)
	s_add_u32 s0, s0, s2
	s_addc_u32 s1, s1, s3
	global_load_dwordx2 v[0:1], v3, s[0:1]
	s_waitcnt vmcnt(0)
	v_cmp_lt_u32_e32 vcc, v1, v0
	v_cndmask_b32_e32 v2, v1, v0, vcc
	v_cndmask_b32_e32 v1, v0, v1, vcc
	global_store_dwordx2 v3, v[1:2], s[0:1]
	s_endpgm
	.section	.rodata,"a",@progbits
	.p2align	6, 0x0
	.amdhsa_kernel _Z9sort_keysILj256ELj2EjN10test_utils4lessEEvPT1_T2_
		.amdhsa_group_segment_fixed_size 0
		.amdhsa_private_segment_fixed_size 0
		.amdhsa_kernarg_size 12
		.amdhsa_user_sgpr_count 6
		.amdhsa_user_sgpr_private_segment_buffer 1
		.amdhsa_user_sgpr_dispatch_ptr 0
		.amdhsa_user_sgpr_queue_ptr 0
		.amdhsa_user_sgpr_kernarg_segment_ptr 1
		.amdhsa_user_sgpr_dispatch_id 0
		.amdhsa_user_sgpr_flat_scratch_init 0
		.amdhsa_user_sgpr_private_segment_size 0
		.amdhsa_uses_dynamic_stack 0
		.amdhsa_system_sgpr_private_segment_wavefront_offset 0
		.amdhsa_system_sgpr_workgroup_id_x 1
		.amdhsa_system_sgpr_workgroup_id_y 0
		.amdhsa_system_sgpr_workgroup_id_z 0
		.amdhsa_system_sgpr_workgroup_info 0
		.amdhsa_system_vgpr_workitem_id 0
		.amdhsa_next_free_vgpr 4
		.amdhsa_next_free_sgpr 7
		.amdhsa_reserve_vcc 1
		.amdhsa_reserve_flat_scratch 0
		.amdhsa_float_round_mode_32 0
		.amdhsa_float_round_mode_16_64 0
		.amdhsa_float_denorm_mode_32 3
		.amdhsa_float_denorm_mode_16_64 3
		.amdhsa_dx10_clamp 1
		.amdhsa_ieee_mode 1
		.amdhsa_fp16_overflow 0
		.amdhsa_exception_fp_ieee_invalid_op 0
		.amdhsa_exception_fp_denorm_src 0
		.amdhsa_exception_fp_ieee_div_zero 0
		.amdhsa_exception_fp_ieee_overflow 0
		.amdhsa_exception_fp_ieee_underflow 0
		.amdhsa_exception_fp_ieee_inexact 0
		.amdhsa_exception_int_div_zero 0
	.end_amdhsa_kernel
	.section	.text._Z9sort_keysILj256ELj2EjN10test_utils4lessEEvPT1_T2_,"axG",@progbits,_Z9sort_keysILj256ELj2EjN10test_utils4lessEEvPT1_T2_,comdat
.Lfunc_end12:
	.size	_Z9sort_keysILj256ELj2EjN10test_utils4lessEEvPT1_T2_, .Lfunc_end12-_Z9sort_keysILj256ELj2EjN10test_utils4lessEEvPT1_T2_
                                        ; -- End function
	.set _Z9sort_keysILj256ELj2EjN10test_utils4lessEEvPT1_T2_.num_vgpr, 4
	.set _Z9sort_keysILj256ELj2EjN10test_utils4lessEEvPT1_T2_.num_agpr, 0
	.set _Z9sort_keysILj256ELj2EjN10test_utils4lessEEvPT1_T2_.numbered_sgpr, 7
	.set _Z9sort_keysILj256ELj2EjN10test_utils4lessEEvPT1_T2_.num_named_barrier, 0
	.set _Z9sort_keysILj256ELj2EjN10test_utils4lessEEvPT1_T2_.private_seg_size, 0
	.set _Z9sort_keysILj256ELj2EjN10test_utils4lessEEvPT1_T2_.uses_vcc, 1
	.set _Z9sort_keysILj256ELj2EjN10test_utils4lessEEvPT1_T2_.uses_flat_scratch, 0
	.set _Z9sort_keysILj256ELj2EjN10test_utils4lessEEvPT1_T2_.has_dyn_sized_stack, 0
	.set _Z9sort_keysILj256ELj2EjN10test_utils4lessEEvPT1_T2_.has_recursion, 0
	.set _Z9sort_keysILj256ELj2EjN10test_utils4lessEEvPT1_T2_.has_indirect_call, 0
	.section	.AMDGPU.csdata,"",@progbits
; Kernel info:
; codeLenInByte = 72
; TotalNumSgprs: 11
; NumVgprs: 4
; ScratchSize: 0
; MemoryBound: 0
; FloatMode: 240
; IeeeMode: 1
; LDSByteSize: 0 bytes/workgroup (compile time only)
; SGPRBlocks: 1
; VGPRBlocks: 0
; NumSGPRsForWavesPerEU: 11
; NumVGPRsForWavesPerEU: 4
; Occupancy: 10
; WaveLimiterHint : 0
; COMPUTE_PGM_RSRC2:SCRATCH_EN: 0
; COMPUTE_PGM_RSRC2:USER_SGPR: 6
; COMPUTE_PGM_RSRC2:TRAP_HANDLER: 0
; COMPUTE_PGM_RSRC2:TGID_X_EN: 1
; COMPUTE_PGM_RSRC2:TGID_Y_EN: 0
; COMPUTE_PGM_RSRC2:TGID_Z_EN: 0
; COMPUTE_PGM_RSRC2:TIDIG_COMP_CNT: 0
	.section	.text._Z9sort_keysILj256ELj1EiN10test_utils4lessEEvPT1_T2_,"axG",@progbits,_Z9sort_keysILj256ELj1EiN10test_utils4lessEEvPT1_T2_,comdat
	.protected	_Z9sort_keysILj256ELj1EiN10test_utils4lessEEvPT1_T2_ ; -- Begin function _Z9sort_keysILj256ELj1EiN10test_utils4lessEEvPT1_T2_
	.globl	_Z9sort_keysILj256ELj1EiN10test_utils4lessEEvPT1_T2_
	.p2align	8
	.type	_Z9sort_keysILj256ELj1EiN10test_utils4lessEEvPT1_T2_,@function
_Z9sort_keysILj256ELj1EiN10test_utils4lessEEvPT1_T2_: ; @_Z9sort_keysILj256ELj1EiN10test_utils4lessEEvPT1_T2_
; %bb.0:
	s_endpgm
	.section	.rodata,"a",@progbits
	.p2align	6, 0x0
	.amdhsa_kernel _Z9sort_keysILj256ELj1EiN10test_utils4lessEEvPT1_T2_
		.amdhsa_group_segment_fixed_size 0
		.amdhsa_private_segment_fixed_size 0
		.amdhsa_kernarg_size 12
		.amdhsa_user_sgpr_count 6
		.amdhsa_user_sgpr_private_segment_buffer 1
		.amdhsa_user_sgpr_dispatch_ptr 0
		.amdhsa_user_sgpr_queue_ptr 0
		.amdhsa_user_sgpr_kernarg_segment_ptr 1
		.amdhsa_user_sgpr_dispatch_id 0
		.amdhsa_user_sgpr_flat_scratch_init 0
		.amdhsa_user_sgpr_private_segment_size 0
		.amdhsa_uses_dynamic_stack 0
		.amdhsa_system_sgpr_private_segment_wavefront_offset 0
		.amdhsa_system_sgpr_workgroup_id_x 1
		.amdhsa_system_sgpr_workgroup_id_y 0
		.amdhsa_system_sgpr_workgroup_id_z 0
		.amdhsa_system_sgpr_workgroup_info 0
		.amdhsa_system_vgpr_workitem_id 0
		.amdhsa_next_free_vgpr 1
		.amdhsa_next_free_sgpr 0
		.amdhsa_reserve_vcc 0
		.amdhsa_reserve_flat_scratch 0
		.amdhsa_float_round_mode_32 0
		.amdhsa_float_round_mode_16_64 0
		.amdhsa_float_denorm_mode_32 3
		.amdhsa_float_denorm_mode_16_64 3
		.amdhsa_dx10_clamp 1
		.amdhsa_ieee_mode 1
		.amdhsa_fp16_overflow 0
		.amdhsa_exception_fp_ieee_invalid_op 0
		.amdhsa_exception_fp_denorm_src 0
		.amdhsa_exception_fp_ieee_div_zero 0
		.amdhsa_exception_fp_ieee_overflow 0
		.amdhsa_exception_fp_ieee_underflow 0
		.amdhsa_exception_fp_ieee_inexact 0
		.amdhsa_exception_int_div_zero 0
	.end_amdhsa_kernel
	.section	.text._Z9sort_keysILj256ELj1EiN10test_utils4lessEEvPT1_T2_,"axG",@progbits,_Z9sort_keysILj256ELj1EiN10test_utils4lessEEvPT1_T2_,comdat
.Lfunc_end13:
	.size	_Z9sort_keysILj256ELj1EiN10test_utils4lessEEvPT1_T2_, .Lfunc_end13-_Z9sort_keysILj256ELj1EiN10test_utils4lessEEvPT1_T2_
                                        ; -- End function
	.set _Z9sort_keysILj256ELj1EiN10test_utils4lessEEvPT1_T2_.num_vgpr, 0
	.set _Z9sort_keysILj256ELj1EiN10test_utils4lessEEvPT1_T2_.num_agpr, 0
	.set _Z9sort_keysILj256ELj1EiN10test_utils4lessEEvPT1_T2_.numbered_sgpr, 0
	.set _Z9sort_keysILj256ELj1EiN10test_utils4lessEEvPT1_T2_.num_named_barrier, 0
	.set _Z9sort_keysILj256ELj1EiN10test_utils4lessEEvPT1_T2_.private_seg_size, 0
	.set _Z9sort_keysILj256ELj1EiN10test_utils4lessEEvPT1_T2_.uses_vcc, 0
	.set _Z9sort_keysILj256ELj1EiN10test_utils4lessEEvPT1_T2_.uses_flat_scratch, 0
	.set _Z9sort_keysILj256ELj1EiN10test_utils4lessEEvPT1_T2_.has_dyn_sized_stack, 0
	.set _Z9sort_keysILj256ELj1EiN10test_utils4lessEEvPT1_T2_.has_recursion, 0
	.set _Z9sort_keysILj256ELj1EiN10test_utils4lessEEvPT1_T2_.has_indirect_call, 0
	.section	.AMDGPU.csdata,"",@progbits
; Kernel info:
; codeLenInByte = 4
; TotalNumSgprs: 4
; NumVgprs: 0
; ScratchSize: 0
; MemoryBound: 0
; FloatMode: 240
; IeeeMode: 1
; LDSByteSize: 0 bytes/workgroup (compile time only)
; SGPRBlocks: 0
; VGPRBlocks: 0
; NumSGPRsForWavesPerEU: 4
; NumVGPRsForWavesPerEU: 1
; Occupancy: 10
; WaveLimiterHint : 0
; COMPUTE_PGM_RSRC2:SCRATCH_EN: 0
; COMPUTE_PGM_RSRC2:USER_SGPR: 6
; COMPUTE_PGM_RSRC2:TRAP_HANDLER: 0
; COMPUTE_PGM_RSRC2:TGID_X_EN: 1
; COMPUTE_PGM_RSRC2:TGID_Y_EN: 0
; COMPUTE_PGM_RSRC2:TGID_Z_EN: 0
; COMPUTE_PGM_RSRC2:TIDIG_COMP_CNT: 0
	.section	.text._Z16sort_keys_valuesILj256ELj7E12hip_bfloat16iN10test_utils4lessEEvPT1_PT2_T3_,"axG",@progbits,_Z16sort_keys_valuesILj256ELj7E12hip_bfloat16iN10test_utils4lessEEvPT1_PT2_T3_,comdat
	.protected	_Z16sort_keys_valuesILj256ELj7E12hip_bfloat16iN10test_utils4lessEEvPT1_PT2_T3_ ; -- Begin function _Z16sort_keys_valuesILj256ELj7E12hip_bfloat16iN10test_utils4lessEEvPT1_PT2_T3_
	.globl	_Z16sort_keys_valuesILj256ELj7E12hip_bfloat16iN10test_utils4lessEEvPT1_PT2_T3_
	.p2align	8
	.type	_Z16sort_keys_valuesILj256ELj7E12hip_bfloat16iN10test_utils4lessEEvPT1_PT2_T3_,@function
_Z16sort_keys_valuesILj256ELj7E12hip_bfloat16iN10test_utils4lessEEvPT1_PT2_T3_: ; @_Z16sort_keys_valuesILj256ELj7E12hip_bfloat16iN10test_utils4lessEEvPT1_PT2_T3_
; %bb.0:
	s_load_dwordx4 s[0:3], s[4:5], 0x0
	s_mul_i32 s4, s6, 0x700
	s_mov_b32 s5, 0
	s_lshl_b64 s[6:7], s[4:5], 1
	v_mul_u32_u24_e32 v0, 7, v0
	s_waitcnt lgkmcnt(0)
	s_add_u32 s6, s0, s6
	s_addc_u32 s7, s1, s7
	v_lshlrev_b32_e32 v10, 1, v0
	s_lshl_b64 s[0:1], s[4:5], 2
	global_load_ushort v11, v10, s[6:7] offset:12
	global_load_dwordx3 v[4:6], v10, s[6:7]
	s_add_u32 s8, s2, s0
	s_addc_u32 s9, s3, s1
	v_lshlrev_b32_e32 v12, 2, v0
	global_load_dwordx3 v[7:9], v12, s[8:9] offset:16
	global_load_dwordx4 v[0:3], v12, s[8:9]
	s_waitcnt vmcnt(2)
	v_and_b32_e32 v13, 0xffff0000, v4
	v_lshlrev_b32_e32 v14, 16, v4
	v_cmp_lt_f32_e32 vcc, v13, v14
	v_lshrrev_b32_e32 v13, 16, v4
	v_cndmask_b32_e32 v14, v13, v4, vcc
	v_cndmask_b32_e32 v4, v4, v13, vcc
	s_waitcnt vmcnt(0)
	v_cndmask_b32_e32 v13, v0, v1, vcc
	v_cndmask_b32_e32 v0, v1, v0, vcc
	v_and_b32_e32 v1, 0xffff0000, v5
	v_lshlrev_b32_e32 v15, 16, v5
	v_cmp_lt_f32_e32 vcc, v1, v15
	v_lshrrev_b32_e32 v1, 16, v5
	v_cndmask_b32_e32 v15, v1, v5, vcc
	v_cndmask_b32_e32 v1, v5, v1, vcc
	;; [unrolled: 1-line block ×4, first 2 shown]
	v_and_b32_e32 v3, 0xffff0000, v6
	v_lshlrev_b32_e32 v16, 16, v6
	v_cmp_lt_f32_e32 vcc, v3, v16
	v_lshrrev_b32_e32 v3, 16, v6
	v_cndmask_b32_e32 v16, v3, v6, vcc
	v_cndmask_b32_e32 v3, v6, v3, vcc
	v_cndmask_b32_e32 v6, v8, v7, vcc
	v_cndmask_b32_e32 v7, v7, v8, vcc
	v_lshlrev_b32_e32 v8, 16, v1
	v_lshlrev_b32_e32 v17, 16, v14
	v_cmp_lt_f32_e32 vcc, v8, v17
	v_cndmask_b32_e32 v8, v1, v14, vcc
	v_cndmask_b32_e32 v17, v2, v0, vcc
	v_cndmask_b32_e32 v0, v0, v2, vcc
	v_cndmask_b32_e32 v1, v14, v1, vcc
	v_lshlrev_b32_e32 v2, 16, v3
	v_lshlrev_b32_e32 v14, 16, v15
	v_cmp_lt_f32_e32 vcc, v2, v14
	;; [unrolled: 7-line block ×9, first 2 shown]
	v_cndmask_b32_e32 v8, v15, v11, vcc
	v_cndmask_b32_e32 v11, v11, v15, vcc
	v_lshlrev_b32_e32 v15, 16, v1
	v_lshlrev_b32_e32 v18, 16, v13
	v_cmp_lt_f32_e64 s[0:1], v15, v18
	v_cndmask_b32_e64 v15, v9, v0, s[0:1]
	v_cndmask_b32_e64 v0, v0, v9, s[0:1]
	;; [unrolled: 1-line block ×4, first 2 shown]
	v_lshlrev_b32_e32 v13, 16, v2
	v_lshlrev_b32_e32 v18, 16, v14
	v_cndmask_b32_e32 v6, v16, v7, vcc
	v_cmp_lt_f32_e64 s[0:1], v13, v18
	v_cndmask_b32_e64 v18, v5, v17, s[0:1]
	v_cndmask_b32_e64 v5, v17, v5, s[0:1]
	v_lshlrev_b32_e32 v17, 16, v6
	v_lshlrev_b32_e32 v19, 16, v3
	v_cndmask_b32_e64 v13, v14, v2, s[0:1]
	v_cmp_lt_f32_e64 s[2:3], v17, v19
	v_cndmask_b32_e64 v17, v11, v4, s[2:3]
	v_cndmask_b32_e64 v4, v4, v11, s[2:3]
	v_lshlrev_b32_e32 v11, 16, v13
	v_lshlrev_b32_e32 v19, 16, v1
	v_cmp_lt_f32_e64 s[4:5], v11, v19
	v_cndmask_b32_e64 v19, v5, v0, s[4:5]
	v_cndmask_b32_e64 v0, v0, v5, s[4:5]
	;; [unrolled: 1-line block ×7, first 2 shown]
	v_cndmask_b32_e32 v6, v7, v16, vcc
	v_lshlrev_b32_e32 v7, 16, v5
	v_lshlrev_b32_e32 v13, 16, v2
	v_cmp_lt_f32_e32 vcc, v7, v13
	v_cndmask_b32_e32 v7, v5, v2, vcc
	v_cndmask_b32_e32 v2, v2, v5, vcc
	v_lshlrev_b32_e32 v5, 16, v6
	v_lshlrev_b32_e32 v14, 16, v3
	v_cndmask_b32_e32 v13, v4, v18, vcc
	v_cndmask_b32_e32 v4, v18, v4, vcc
	v_cmp_lt_f32_e32 vcc, v5, v14
	v_cndmask_b32_e32 v14, v6, v3, vcc
	v_cndmask_b32_e32 v5, v3, v6, vcc
	v_lshlrev_b32_e32 v3, 16, v1
	v_lshlrev_b32_e32 v16, 16, v9
	v_cndmask_b32_e32 v6, v8, v17, vcc
	v_cndmask_b32_e32 v8, v17, v8, vcc
	v_cmp_lt_f32_e32 vcc, v3, v16
	v_cndmask_b32_e32 v16, v1, v9, vcc
	v_cndmask_b32_e32 v9, v9, v1, vcc
	;; [unrolled: 1-line block ×4, first 2 shown]
	v_lshlrev_b32_e32 v3, 16, v2
	v_lshlrev_b32_e32 v15, 16, v11
	v_cmp_lt_f32_e32 vcc, v3, v15
	v_cndmask_b32_e32 v15, v2, v11, vcc
	v_cndmask_b32_e32 v11, v11, v2, vcc
	;; [unrolled: 1-line block ×4, first 2 shown]
	v_lshlrev_b32_e32 v4, 16, v5
	v_lshlrev_b32_e32 v17, 16, v7
	v_cmp_lt_f32_e32 vcc, v4, v17
	v_cndmask_b32_e32 v17, v5, v7, vcc
	v_cndmask_b32_e32 v18, v7, v5, vcc
	s_mov_b32 s0, 0x5040100
	v_cndmask_b32_e32 v5, v8, v13, vcc
	v_cndmask_b32_e32 v4, v13, v8, vcc
	v_perm_b32 v8, v15, v11, s0
	v_perm_b32 v7, v16, v9, s0
	;; [unrolled: 1-line block ×3, first 2 shown]
	global_store_short v10, v14, s[6:7] offset:12
	global_store_dwordx3 v10, v[7:9], s[6:7]
	global_store_dwordx4 v12, v[0:3], s[8:9]
	global_store_dwordx3 v12, v[4:6], s[8:9] offset:16
	s_endpgm
	.section	.rodata,"a",@progbits
	.p2align	6, 0x0
	.amdhsa_kernel _Z16sort_keys_valuesILj256ELj7E12hip_bfloat16iN10test_utils4lessEEvPT1_PT2_T3_
		.amdhsa_group_segment_fixed_size 0
		.amdhsa_private_segment_fixed_size 0
		.amdhsa_kernarg_size 20
		.amdhsa_user_sgpr_count 6
		.amdhsa_user_sgpr_private_segment_buffer 1
		.amdhsa_user_sgpr_dispatch_ptr 0
		.amdhsa_user_sgpr_queue_ptr 0
		.amdhsa_user_sgpr_kernarg_segment_ptr 1
		.amdhsa_user_sgpr_dispatch_id 0
		.amdhsa_user_sgpr_flat_scratch_init 0
		.amdhsa_user_sgpr_private_segment_size 0
		.amdhsa_uses_dynamic_stack 0
		.amdhsa_system_sgpr_private_segment_wavefront_offset 0
		.amdhsa_system_sgpr_workgroup_id_x 1
		.amdhsa_system_sgpr_workgroup_id_y 0
		.amdhsa_system_sgpr_workgroup_id_z 0
		.amdhsa_system_sgpr_workgroup_info 0
		.amdhsa_system_vgpr_workitem_id 0
		.amdhsa_next_free_vgpr 20
		.amdhsa_next_free_sgpr 10
		.amdhsa_reserve_vcc 1
		.amdhsa_reserve_flat_scratch 0
		.amdhsa_float_round_mode_32 0
		.amdhsa_float_round_mode_16_64 0
		.amdhsa_float_denorm_mode_32 3
		.amdhsa_float_denorm_mode_16_64 3
		.amdhsa_dx10_clamp 1
		.amdhsa_ieee_mode 1
		.amdhsa_fp16_overflow 0
		.amdhsa_exception_fp_ieee_invalid_op 0
		.amdhsa_exception_fp_denorm_src 0
		.amdhsa_exception_fp_ieee_div_zero 0
		.amdhsa_exception_fp_ieee_overflow 0
		.amdhsa_exception_fp_ieee_underflow 0
		.amdhsa_exception_fp_ieee_inexact 0
		.amdhsa_exception_int_div_zero 0
	.end_amdhsa_kernel
	.section	.text._Z16sort_keys_valuesILj256ELj7E12hip_bfloat16iN10test_utils4lessEEvPT1_PT2_T3_,"axG",@progbits,_Z16sort_keys_valuesILj256ELj7E12hip_bfloat16iN10test_utils4lessEEvPT1_PT2_T3_,comdat
.Lfunc_end14:
	.size	_Z16sort_keys_valuesILj256ELj7E12hip_bfloat16iN10test_utils4lessEEvPT1_PT2_T3_, .Lfunc_end14-_Z16sort_keys_valuesILj256ELj7E12hip_bfloat16iN10test_utils4lessEEvPT1_PT2_T3_
                                        ; -- End function
	.set _Z16sort_keys_valuesILj256ELj7E12hip_bfloat16iN10test_utils4lessEEvPT1_PT2_T3_.num_vgpr, 20
	.set _Z16sort_keys_valuesILj256ELj7E12hip_bfloat16iN10test_utils4lessEEvPT1_PT2_T3_.num_agpr, 0
	.set _Z16sort_keys_valuesILj256ELj7E12hip_bfloat16iN10test_utils4lessEEvPT1_PT2_T3_.numbered_sgpr, 10
	.set _Z16sort_keys_valuesILj256ELj7E12hip_bfloat16iN10test_utils4lessEEvPT1_PT2_T3_.num_named_barrier, 0
	.set _Z16sort_keys_valuesILj256ELj7E12hip_bfloat16iN10test_utils4lessEEvPT1_PT2_T3_.private_seg_size, 0
	.set _Z16sort_keys_valuesILj256ELj7E12hip_bfloat16iN10test_utils4lessEEvPT1_PT2_T3_.uses_vcc, 1
	.set _Z16sort_keys_valuesILj256ELj7E12hip_bfloat16iN10test_utils4lessEEvPT1_PT2_T3_.uses_flat_scratch, 0
	.set _Z16sort_keys_valuesILj256ELj7E12hip_bfloat16iN10test_utils4lessEEvPT1_PT2_T3_.has_dyn_sized_stack, 0
	.set _Z16sort_keys_valuesILj256ELj7E12hip_bfloat16iN10test_utils4lessEEvPT1_PT2_T3_.has_recursion, 0
	.set _Z16sort_keys_valuesILj256ELj7E12hip_bfloat16iN10test_utils4lessEEvPT1_PT2_T3_.has_indirect_call, 0
	.section	.AMDGPU.csdata,"",@progbits
; Kernel info:
; codeLenInByte = 860
; TotalNumSgprs: 14
; NumVgprs: 20
; ScratchSize: 0
; MemoryBound: 0
; FloatMode: 240
; IeeeMode: 1
; LDSByteSize: 0 bytes/workgroup (compile time only)
; SGPRBlocks: 1
; VGPRBlocks: 4
; NumSGPRsForWavesPerEU: 14
; NumVGPRsForWavesPerEU: 20
; Occupancy: 10
; WaveLimiterHint : 0
; COMPUTE_PGM_RSRC2:SCRATCH_EN: 0
; COMPUTE_PGM_RSRC2:USER_SGPR: 6
; COMPUTE_PGM_RSRC2:TRAP_HANDLER: 0
; COMPUTE_PGM_RSRC2:TGID_X_EN: 1
; COMPUTE_PGM_RSRC2:TGID_Y_EN: 0
; COMPUTE_PGM_RSRC2:TGID_Z_EN: 0
; COMPUTE_PGM_RSRC2:TIDIG_COMP_CNT: 0
	.section	.text._Z16sort_keys_valuesILj256ELj6E6__halfS0_N10test_utils4lessEEvPT1_PT2_T3_,"axG",@progbits,_Z16sort_keys_valuesILj256ELj6E6__halfS0_N10test_utils4lessEEvPT1_PT2_T3_,comdat
	.protected	_Z16sort_keys_valuesILj256ELj6E6__halfS0_N10test_utils4lessEEvPT1_PT2_T3_ ; -- Begin function _Z16sort_keys_valuesILj256ELj6E6__halfS0_N10test_utils4lessEEvPT1_PT2_T3_
	.globl	_Z16sort_keys_valuesILj256ELj6E6__halfS0_N10test_utils4lessEEvPT1_PT2_T3_
	.p2align	8
	.type	_Z16sort_keys_valuesILj256ELj6E6__halfS0_N10test_utils4lessEEvPT1_PT2_T3_,@function
_Z16sort_keys_valuesILj256ELj6E6__halfS0_N10test_utils4lessEEvPT1_PT2_T3_: ; @_Z16sort_keys_valuesILj256ELj6E6__halfS0_N10test_utils4lessEEvPT1_PT2_T3_
; %bb.0:
	s_load_dwordx4 s[0:3], s[4:5], 0x0
	s_mul_i32 s4, s6, 0x600
	s_mov_b32 s5, 0
	s_lshl_b64 s[4:5], s[4:5], 1
	v_mul_u32_u24_e32 v0, 6, v0
	s_waitcnt lgkmcnt(0)
	s_add_u32 s0, s0, s4
	s_addc_u32 s1, s1, s5
	s_add_u32 s2, s2, s4
	v_lshlrev_b32_e32 v6, 1, v0
	s_addc_u32 s3, s3, s5
	global_load_dwordx3 v[0:2], v6, s[0:1]
	global_load_dwordx3 v[3:5], v6, s[2:3]
	s_waitcnt vmcnt(1)
	v_lshrrev_b32_e32 v9, 16, v0
	s_waitcnt vmcnt(0)
	v_lshrrev_b32_e32 v10, 16, v3
	v_cmp_gt_f16_e32 vcc, v0, v9
	v_mov_b32_e32 v7, v9
	v_mov_b32_e32 v8, v10
	s_and_saveexec_b64 s[4:5], vcc
; %bb.1:
	v_mov_b32_e32 v7, v0
	v_mov_b32_e32 v0, v9
	;; [unrolled: 1-line block ×4, first 2 shown]
; %bb.2:
	s_or_b64 exec, exec, s[4:5]
	v_lshrrev_b32_e32 v11, 16, v1
	v_lshrrev_b32_e32 v12, 16, v4
	v_cmp_gt_f16_e32 vcc, v1, v11
	v_mov_b32_e32 v9, v11
	v_mov_b32_e32 v10, v12
	s_and_saveexec_b64 s[4:5], vcc
; %bb.3:
	v_mov_b32_e32 v9, v1
	v_mov_b32_e32 v1, v11
	;; [unrolled: 1-line block ×4, first 2 shown]
; %bb.4:
	s_or_b64 exec, exec, s[4:5]
	v_lshrrev_b32_e32 v12, 16, v2
	v_lshrrev_b32_e32 v13, 16, v5
	v_cmp_gt_f16_e32 vcc, v2, v12
	v_mov_b32_e32 v11, v12
	v_mov_b32_e32 v14, v13
	s_and_saveexec_b64 s[4:5], vcc
; %bb.5:
	v_mov_b32_e32 v11, v2
	v_mov_b32_e32 v2, v12
	;; [unrolled: 1-line block ×4, first 2 shown]
; %bb.6:
	s_or_b64 exec, exec, s[4:5]
	v_cmp_gt_f16_e32 vcc, v7, v1
	v_mov_b32_e32 v12, v1
	v_mov_b32_e32 v15, v4
	s_and_saveexec_b64 s[4:5], vcc
	s_xor_b64 s[4:5], exec, s[4:5]
; %bb.7:
	v_mov_b32_e32 v12, v7
	v_mov_b32_e32 v7, v1
	v_mov_b32_e32 v15, v8
	v_mov_b32_e32 v8, v4
; %bb.8:
	s_or_b64 exec, exec, s[4:5]
	v_cmp_gt_f16_e32 vcc, v9, v2
	v_mov_b32_e32 v4, v2
	v_mov_b32_e32 v16, v5
	s_and_saveexec_b64 s[4:5], vcc
; %bb.9:
	v_mov_b32_e32 v4, v9
	v_mov_b32_e32 v9, v2
	v_mov_b32_e32 v16, v10
	v_mov_b32_e32 v10, v5
; %bb.10:
	s_or_b64 exec, exec, s[4:5]
	v_cmp_gt_f16_e32 vcc, v0, v7
	v_mov_b32_e32 v5, v7
	v_mov_b32_e32 v17, v8
	s_and_saveexec_b64 s[4:5], vcc
	;; [unrolled: 11-line block ×8, first 2 shown]
; %bb.23:
	v_mov_b32_e32 v15, v9
	v_mov_b32_e32 v9, v13
	;; [unrolled: 1-line block ×4, first 2 shown]
; %bb.24:
	s_or_b64 exec, exec, s[4:5]
	v_mov_b32_e32 v5, s1
	v_mov_b32_e32 v17, s3
	v_cmp_gt_f16_e32 vcc, v7, v1
	v_mov_b32_e32 v16, v1
	v_mov_b32_e32 v13, v2
	s_and_saveexec_b64 s[4:5], vcc
; %bb.25:
	v_mov_b32_e32 v16, v7
	v_mov_b32_e32 v7, v1
	;; [unrolled: 1-line block ×4, first 2 shown]
; %bb.26:
	s_or_b64 exec, exec, s[4:5]
	v_add_co_u32_e32 v4, vcc, s0, v6
	v_addc_co_u32_e32 v5, vcc, 0, v5, vcc
	v_add_co_u32_e32 v1, vcc, s2, v6
	v_addc_co_u32_e32 v2, vcc, 0, v17, vcc
	v_cmp_gt_f16_e32 vcc, v12, v9
	v_mov_b32_e32 v17, v9
	v_mov_b32_e32 v6, v11
	s_and_saveexec_b64 s[0:1], vcc
; %bb.27:
	v_mov_b32_e32 v17, v12
	v_mov_b32_e32 v12, v9
	;; [unrolled: 1-line block ×4, first 2 shown]
; %bb.28:
	s_or_b64 exec, exec, s[0:1]
	v_cmp_gt_f16_e32 vcc, v15, v7
	v_mov_b32_e32 v11, v7
	v_mov_b32_e32 v9, v8
	s_and_saveexec_b64 s[0:1], vcc
; %bb.29:
	v_mov_b32_e32 v11, v15
	v_mov_b32_e32 v15, v7
	;; [unrolled: 1-line block ×4, first 2 shown]
; %bb.30:
	s_or_b64 exec, exec, s[0:1]
	s_mov_b32 s0, 0x5040100
	v_perm_b32 v18, v16, v11, s0
	v_perm_b32 v17, v15, v17, s0
	;; [unrolled: 1-line block ×3, first 2 shown]
	global_store_dwordx3 v[4:5], v[16:18], off
	v_perm_b32 v5, v13, v9, s0
	v_perm_b32 v4, v14, v6, s0
	;; [unrolled: 1-line block ×3, first 2 shown]
	global_store_dwordx3 v[1:2], v[3:5], off
	s_endpgm
	.section	.rodata,"a",@progbits
	.p2align	6, 0x0
	.amdhsa_kernel _Z16sort_keys_valuesILj256ELj6E6__halfS0_N10test_utils4lessEEvPT1_PT2_T3_
		.amdhsa_group_segment_fixed_size 0
		.amdhsa_private_segment_fixed_size 0
		.amdhsa_kernarg_size 20
		.amdhsa_user_sgpr_count 6
		.amdhsa_user_sgpr_private_segment_buffer 1
		.amdhsa_user_sgpr_dispatch_ptr 0
		.amdhsa_user_sgpr_queue_ptr 0
		.amdhsa_user_sgpr_kernarg_segment_ptr 1
		.amdhsa_user_sgpr_dispatch_id 0
		.amdhsa_user_sgpr_flat_scratch_init 0
		.amdhsa_user_sgpr_private_segment_size 0
		.amdhsa_uses_dynamic_stack 0
		.amdhsa_system_sgpr_private_segment_wavefront_offset 0
		.amdhsa_system_sgpr_workgroup_id_x 1
		.amdhsa_system_sgpr_workgroup_id_y 0
		.amdhsa_system_sgpr_workgroup_id_z 0
		.amdhsa_system_sgpr_workgroup_info 0
		.amdhsa_system_vgpr_workitem_id 0
		.amdhsa_next_free_vgpr 19
		.amdhsa_next_free_sgpr 7
		.amdhsa_reserve_vcc 1
		.amdhsa_reserve_flat_scratch 0
		.amdhsa_float_round_mode_32 0
		.amdhsa_float_round_mode_16_64 0
		.amdhsa_float_denorm_mode_32 3
		.amdhsa_float_denorm_mode_16_64 3
		.amdhsa_dx10_clamp 1
		.amdhsa_ieee_mode 1
		.amdhsa_fp16_overflow 0
		.amdhsa_exception_fp_ieee_invalid_op 0
		.amdhsa_exception_fp_denorm_src 0
		.amdhsa_exception_fp_ieee_div_zero 0
		.amdhsa_exception_fp_ieee_overflow 0
		.amdhsa_exception_fp_ieee_underflow 0
		.amdhsa_exception_fp_ieee_inexact 0
		.amdhsa_exception_int_div_zero 0
	.end_amdhsa_kernel
	.section	.text._Z16sort_keys_valuesILj256ELj6E6__halfS0_N10test_utils4lessEEvPT1_PT2_T3_,"axG",@progbits,_Z16sort_keys_valuesILj256ELj6E6__halfS0_N10test_utils4lessEEvPT1_PT2_T3_,comdat
.Lfunc_end15:
	.size	_Z16sort_keys_valuesILj256ELj6E6__halfS0_N10test_utils4lessEEvPT1_PT2_T3_, .Lfunc_end15-_Z16sort_keys_valuesILj256ELj6E6__halfS0_N10test_utils4lessEEvPT1_PT2_T3_
                                        ; -- End function
	.set _Z16sort_keys_valuesILj256ELj6E6__halfS0_N10test_utils4lessEEvPT1_PT2_T3_.num_vgpr, 19
	.set _Z16sort_keys_valuesILj256ELj6E6__halfS0_N10test_utils4lessEEvPT1_PT2_T3_.num_agpr, 0
	.set _Z16sort_keys_valuesILj256ELj6E6__halfS0_N10test_utils4lessEEvPT1_PT2_T3_.numbered_sgpr, 7
	.set _Z16sort_keys_valuesILj256ELj6E6__halfS0_N10test_utils4lessEEvPT1_PT2_T3_.num_named_barrier, 0
	.set _Z16sort_keys_valuesILj256ELj6E6__halfS0_N10test_utils4lessEEvPT1_PT2_T3_.private_seg_size, 0
	.set _Z16sort_keys_valuesILj256ELj6E6__halfS0_N10test_utils4lessEEvPT1_PT2_T3_.uses_vcc, 1
	.set _Z16sort_keys_valuesILj256ELj6E6__halfS0_N10test_utils4lessEEvPT1_PT2_T3_.uses_flat_scratch, 0
	.set _Z16sort_keys_valuesILj256ELj6E6__halfS0_N10test_utils4lessEEvPT1_PT2_T3_.has_dyn_sized_stack, 0
	.set _Z16sort_keys_valuesILj256ELj6E6__halfS0_N10test_utils4lessEEvPT1_PT2_T3_.has_recursion, 0
	.set _Z16sort_keys_valuesILj256ELj6E6__halfS0_N10test_utils4lessEEvPT1_PT2_T3_.has_indirect_call, 0
	.section	.AMDGPU.csdata,"",@progbits
; Kernel info:
; codeLenInByte = 744
; TotalNumSgprs: 11
; NumVgprs: 19
; ScratchSize: 0
; MemoryBound: 0
; FloatMode: 240
; IeeeMode: 1
; LDSByteSize: 0 bytes/workgroup (compile time only)
; SGPRBlocks: 1
; VGPRBlocks: 4
; NumSGPRsForWavesPerEU: 11
; NumVGPRsForWavesPerEU: 19
; Occupancy: 10
; WaveLimiterHint : 0
; COMPUTE_PGM_RSRC2:SCRATCH_EN: 0
; COMPUTE_PGM_RSRC2:USER_SGPR: 6
; COMPUTE_PGM_RSRC2:TRAP_HANDLER: 0
; COMPUTE_PGM_RSRC2:TGID_X_EN: 1
; COMPUTE_PGM_RSRC2:TGID_Y_EN: 0
; COMPUTE_PGM_RSRC2:TGID_Z_EN: 0
; COMPUTE_PGM_RSRC2:TIDIG_COMP_CNT: 0
	.section	.text._Z16sort_keys_valuesILj256ELj7E12hip_bfloat16S0_N10test_utils4lessEEvPT1_PT2_T3_,"axG",@progbits,_Z16sort_keys_valuesILj256ELj7E12hip_bfloat16S0_N10test_utils4lessEEvPT1_PT2_T3_,comdat
	.protected	_Z16sort_keys_valuesILj256ELj7E12hip_bfloat16S0_N10test_utils4lessEEvPT1_PT2_T3_ ; -- Begin function _Z16sort_keys_valuesILj256ELj7E12hip_bfloat16S0_N10test_utils4lessEEvPT1_PT2_T3_
	.globl	_Z16sort_keys_valuesILj256ELj7E12hip_bfloat16S0_N10test_utils4lessEEvPT1_PT2_T3_
	.p2align	8
	.type	_Z16sort_keys_valuesILj256ELj7E12hip_bfloat16S0_N10test_utils4lessEEvPT1_PT2_T3_,@function
_Z16sort_keys_valuesILj256ELj7E12hip_bfloat16S0_N10test_utils4lessEEvPT1_PT2_T3_: ; @_Z16sort_keys_valuesILj256ELj7E12hip_bfloat16S0_N10test_utils4lessEEvPT1_PT2_T3_
; %bb.0:
	s_load_dwordx4 s[0:3], s[4:5], 0x0
	s_mul_i32 s4, s6, 0x700
	s_mov_b32 s5, 0
	s_lshl_b64 s[4:5], s[4:5], 1
	v_mul_u32_u24_e32 v0, 7, v0
	s_waitcnt lgkmcnt(0)
	s_add_u32 s0, s0, s4
	s_addc_u32 s1, s1, s5
	v_lshlrev_b32_e32 v6, 1, v0
	global_load_dwordx3 v[3:5], v6, s[0:1]
	s_add_u32 s2, s2, s4
	s_addc_u32 s3, s3, s5
	global_load_dwordx3 v[0:2], v6, s[2:3]
	global_load_ushort v13, v6, s[0:1] offset:12
	global_load_ushort v14, v6, s[2:3] offset:12
	s_waitcnt vmcnt(3)
	v_and_b32_e32 v7, 0xffff0000, v3
	v_lshlrev_b32_e32 v8, 16, v3
	v_lshrrev_b32_e32 v10, 16, v3
	s_waitcnt vmcnt(2)
	v_lshrrev_b32_e32 v9, 16, v0
	v_cmp_lt_f32_e32 vcc, v7, v8
	v_mov_b32_e32 v7, v10
	v_mov_b32_e32 v8, v9
	s_and_saveexec_b64 s[4:5], vcc
; %bb.1:
	v_mov_b32_e32 v7, v3
	v_mov_b32_e32 v3, v10
	;; [unrolled: 1-line block ×4, first 2 shown]
; %bb.2:
	s_or_b64 exec, exec, s[4:5]
	v_lshrrev_b32_e32 v11, 16, v4
	v_lshrrev_b32_e32 v12, 16, v1
	v_and_b32_e32 v9, 0xffff0000, v4
	v_lshlrev_b32_e32 v10, 16, v4
	v_cmp_lt_f32_e32 vcc, v9, v10
	v_mov_b32_e32 v9, v11
	v_mov_b32_e32 v10, v12
	s_and_saveexec_b64 s[4:5], vcc
; %bb.3:
	v_mov_b32_e32 v9, v4
	v_mov_b32_e32 v4, v11
	;; [unrolled: 1-line block ×4, first 2 shown]
; %bb.4:
	s_or_b64 exec, exec, s[4:5]
	v_lshrrev_b32_e32 v12, 16, v5
	v_lshrrev_b32_e32 v16, 16, v2
	v_and_b32_e32 v11, 0xffff0000, v5
	v_lshlrev_b32_e32 v15, 16, v5
	v_cmp_lt_f32_e32 vcc, v11, v15
	v_mov_b32_e32 v11, v12
	v_mov_b32_e32 v15, v16
	s_and_saveexec_b64 s[4:5], vcc
; %bb.5:
	v_mov_b32_e32 v11, v5
	v_mov_b32_e32 v5, v12
	;; [unrolled: 1-line block ×4, first 2 shown]
; %bb.6:
	s_or_b64 exec, exec, s[4:5]
	v_lshlrev_b32_e32 v12, 16, v4
	v_lshlrev_b32_e32 v16, 16, v7
	v_cmp_lt_f32_e32 vcc, v12, v16
	v_mov_b32_e32 v12, v4
	v_mov_b32_e32 v16, v1
	s_and_saveexec_b64 s[4:5], vcc
	s_xor_b64 s[4:5], exec, s[4:5]
; %bb.7:
	v_mov_b32_e32 v12, v7
	v_mov_b32_e32 v7, v4
	;; [unrolled: 1-line block ×4, first 2 shown]
; %bb.8:
	s_or_b64 exec, exec, s[4:5]
	v_lshlrev_b32_e32 v1, 16, v5
	v_lshlrev_b32_e32 v4, 16, v9
	v_cmp_lt_f32_e32 vcc, v1, v4
	v_mov_b32_e32 v1, v5
	v_mov_b32_e32 v4, v2
	s_and_saveexec_b64 s[4:5], vcc
; %bb.9:
	v_mov_b32_e32 v1, v9
	v_mov_b32_e32 v9, v5
	;; [unrolled: 1-line block ×4, first 2 shown]
; %bb.10:
	s_or_b64 exec, exec, s[4:5]
	s_waitcnt vmcnt(1)
	v_lshlrev_b32_e32 v2, 16, v13
	v_lshlrev_b32_e32 v5, 16, v11
	v_cmp_lt_f32_e32 vcc, v2, v5
	v_mov_b32_e32 v2, v13
	s_waitcnt vmcnt(0)
	v_mov_b32_e32 v17, v14
	s_and_saveexec_b64 s[4:5], vcc
; %bb.11:
	v_mov_b32_e32 v2, v11
	v_mov_b32_e32 v11, v13
	v_mov_b32_e32 v17, v15
	v_mov_b32_e32 v15, v14
; %bb.12:
	s_or_b64 exec, exec, s[4:5]
	v_lshlrev_b32_e32 v5, 16, v7
	v_lshlrev_b32_e32 v13, 16, v3
	v_cmp_lt_f32_e32 vcc, v5, v13
	v_mov_b32_e32 v5, v7
	v_mov_b32_e32 v18, v8
	s_and_saveexec_b64 s[4:5], vcc
; %bb.13:
	v_mov_b32_e32 v5, v3
	v_mov_b32_e32 v3, v7
	v_mov_b32_e32 v18, v0
	v_mov_b32_e32 v0, v8
; %bb.14:
	s_or_b64 exec, exec, s[4:5]
	v_lshlrev_b32_e32 v7, 16, v9
	v_lshlrev_b32_e32 v8, 16, v12
	v_cmp_lt_f32_e32 vcc, v7, v8
	v_mov_b32_e32 v7, v9
	;; [unrolled: 13-line block ×12, first 2 shown]
	v_mov_b32_e32 v12, v15
	s_and_saveexec_b64 s[4:5], vcc
; %bb.35:
	v_mov_b32_e32 v16, v7
	v_mov_b32_e32 v7, v4
	;; [unrolled: 1-line block ×4, first 2 shown]
; %bb.36:
	s_or_b64 exec, exec, s[4:5]
	v_lshlrev_b32_e32 v4, 16, v1
	v_lshlrev_b32_e32 v15, 16, v3
	v_mov_b32_e32 v5, s1
	v_mov_b32_e32 v19, s3
	v_cmp_lt_f32_e32 vcc, v4, v15
	v_mov_b32_e32 v18, v1
	v_mov_b32_e32 v15, v2
	s_and_saveexec_b64 s[4:5], vcc
; %bb.37:
	v_mov_b32_e32 v18, v3
	v_mov_b32_e32 v3, v1
	;; [unrolled: 1-line block ×4, first 2 shown]
; %bb.38:
	s_or_b64 exec, exec, s[4:5]
	v_add_co_u32_e32 v4, vcc, s0, v6
	v_addc_co_u32_e32 v5, vcc, 0, v5, vcc
	v_add_co_u32_e32 v1, vcc, s2, v6
	v_addc_co_u32_e32 v2, vcc, 0, v19, vcc
	v_lshlrev_b32_e32 v6, 16, v9
	v_lshlrev_b32_e32 v19, 16, v13
	v_cmp_lt_f32_e32 vcc, v6, v19
	v_mov_b32_e32 v19, v9
	v_mov_b32_e32 v6, v10
	s_and_saveexec_b64 s[0:1], vcc
; %bb.39:
	v_mov_b32_e32 v19, v13
	v_mov_b32_e32 v13, v9
	;; [unrolled: 1-line block ×4, first 2 shown]
; %bb.40:
	s_or_b64 exec, exec, s[0:1]
	v_lshlrev_b32_e32 v9, 16, v7
	v_lshlrev_b32_e32 v10, 16, v17
	v_cmp_lt_f32_e32 vcc, v9, v10
	v_mov_b32_e32 v10, v7
	v_mov_b32_e32 v9, v8
	s_and_saveexec_b64 s[0:1], vcc
; %bb.41:
	v_mov_b32_e32 v10, v17
	v_mov_b32_e32 v17, v7
	;; [unrolled: 1-line block ×4, first 2 shown]
; %bb.42:
	s_or_b64 exec, exec, s[0:1]
	s_mov_b32 s0, 0x5040100
	v_perm_b32 v18, v18, v3, s0
	v_perm_b32 v19, v19, v13, s0
	;; [unrolled: 1-line block ×3, first 2 shown]
	global_store_short v[4:5], v16, off offset:12
	global_store_dwordx3 v[4:5], v[18:20], off
	v_perm_b32 v4, v6, v11, s0
	v_perm_b32 v3, v15, v0, s0
	;; [unrolled: 1-line block ×3, first 2 shown]
	global_store_short v[1:2], v12, off offset:12
	global_store_dwordx3 v[1:2], v[3:5], off
	s_endpgm
	.section	.rodata,"a",@progbits
	.p2align	6, 0x0
	.amdhsa_kernel _Z16sort_keys_valuesILj256ELj7E12hip_bfloat16S0_N10test_utils4lessEEvPT1_PT2_T3_
		.amdhsa_group_segment_fixed_size 0
		.amdhsa_private_segment_fixed_size 0
		.amdhsa_kernarg_size 20
		.amdhsa_user_sgpr_count 6
		.amdhsa_user_sgpr_private_segment_buffer 1
		.amdhsa_user_sgpr_dispatch_ptr 0
		.amdhsa_user_sgpr_queue_ptr 0
		.amdhsa_user_sgpr_kernarg_segment_ptr 1
		.amdhsa_user_sgpr_dispatch_id 0
		.amdhsa_user_sgpr_flat_scratch_init 0
		.amdhsa_user_sgpr_private_segment_size 0
		.amdhsa_uses_dynamic_stack 0
		.amdhsa_system_sgpr_private_segment_wavefront_offset 0
		.amdhsa_system_sgpr_workgroup_id_x 1
		.amdhsa_system_sgpr_workgroup_id_y 0
		.amdhsa_system_sgpr_workgroup_id_z 0
		.amdhsa_system_sgpr_workgroup_info 0
		.amdhsa_system_vgpr_workitem_id 0
		.amdhsa_next_free_vgpr 21
		.amdhsa_next_free_sgpr 7
		.amdhsa_reserve_vcc 1
		.amdhsa_reserve_flat_scratch 0
		.amdhsa_float_round_mode_32 0
		.amdhsa_float_round_mode_16_64 0
		.amdhsa_float_denorm_mode_32 3
		.amdhsa_float_denorm_mode_16_64 3
		.amdhsa_dx10_clamp 1
		.amdhsa_ieee_mode 1
		.amdhsa_fp16_overflow 0
		.amdhsa_exception_fp_ieee_invalid_op 0
		.amdhsa_exception_fp_denorm_src 0
		.amdhsa_exception_fp_ieee_div_zero 0
		.amdhsa_exception_fp_ieee_overflow 0
		.amdhsa_exception_fp_ieee_underflow 0
		.amdhsa_exception_fp_ieee_inexact 0
		.amdhsa_exception_int_div_zero 0
	.end_amdhsa_kernel
	.section	.text._Z16sort_keys_valuesILj256ELj7E12hip_bfloat16S0_N10test_utils4lessEEvPT1_PT2_T3_,"axG",@progbits,_Z16sort_keys_valuesILj256ELj7E12hip_bfloat16S0_N10test_utils4lessEEvPT1_PT2_T3_,comdat
.Lfunc_end16:
	.size	_Z16sort_keys_valuesILj256ELj7E12hip_bfloat16S0_N10test_utils4lessEEvPT1_PT2_T3_, .Lfunc_end16-_Z16sort_keys_valuesILj256ELj7E12hip_bfloat16S0_N10test_utils4lessEEvPT1_PT2_T3_
                                        ; -- End function
	.set _Z16sort_keys_valuesILj256ELj7E12hip_bfloat16S0_N10test_utils4lessEEvPT1_PT2_T3_.num_vgpr, 21
	.set _Z16sort_keys_valuesILj256ELj7E12hip_bfloat16S0_N10test_utils4lessEEvPT1_PT2_T3_.num_agpr, 0
	.set _Z16sort_keys_valuesILj256ELj7E12hip_bfloat16S0_N10test_utils4lessEEvPT1_PT2_T3_.numbered_sgpr, 7
	.set _Z16sort_keys_valuesILj256ELj7E12hip_bfloat16S0_N10test_utils4lessEEvPT1_PT2_T3_.num_named_barrier, 0
	.set _Z16sort_keys_valuesILj256ELj7E12hip_bfloat16S0_N10test_utils4lessEEvPT1_PT2_T3_.private_seg_size, 0
	.set _Z16sort_keys_valuesILj256ELj7E12hip_bfloat16S0_N10test_utils4lessEEvPT1_PT2_T3_.uses_vcc, 1
	.set _Z16sort_keys_valuesILj256ELj7E12hip_bfloat16S0_N10test_utils4lessEEvPT1_PT2_T3_.uses_flat_scratch, 0
	.set _Z16sort_keys_valuesILj256ELj7E12hip_bfloat16S0_N10test_utils4lessEEvPT1_PT2_T3_.has_dyn_sized_stack, 0
	.set _Z16sort_keys_valuesILj256ELj7E12hip_bfloat16S0_N10test_utils4lessEEvPT1_PT2_T3_.has_recursion, 0
	.set _Z16sort_keys_valuesILj256ELj7E12hip_bfloat16S0_N10test_utils4lessEEvPT1_PT2_T3_.has_indirect_call, 0
	.section	.AMDGPU.csdata,"",@progbits
; Kernel info:
; codeLenInByte = 1180
; TotalNumSgprs: 11
; NumVgprs: 21
; ScratchSize: 0
; MemoryBound: 0
; FloatMode: 240
; IeeeMode: 1
; LDSByteSize: 0 bytes/workgroup (compile time only)
; SGPRBlocks: 1
; VGPRBlocks: 5
; NumSGPRsForWavesPerEU: 11
; NumVGPRsForWavesPerEU: 21
; Occupancy: 10
; WaveLimiterHint : 0
; COMPUTE_PGM_RSRC2:SCRATCH_EN: 0
; COMPUTE_PGM_RSRC2:USER_SGPR: 6
; COMPUTE_PGM_RSRC2:TRAP_HANDLER: 0
; COMPUTE_PGM_RSRC2:TGID_X_EN: 1
; COMPUTE_PGM_RSRC2:TGID_Y_EN: 0
; COMPUTE_PGM_RSRC2:TGID_Z_EN: 0
; COMPUTE_PGM_RSRC2:TIDIG_COMP_CNT: 0
	.section	.text._Z16sort_keys_valuesILj256ELj4EN10test_utils16custom_test_typeIiEENS1_IcEENS0_4lessEEvPT1_PT2_T3_,"axG",@progbits,_Z16sort_keys_valuesILj256ELj4EN10test_utils16custom_test_typeIiEENS1_IcEENS0_4lessEEvPT1_PT2_T3_,comdat
	.protected	_Z16sort_keys_valuesILj256ELj4EN10test_utils16custom_test_typeIiEENS1_IcEENS0_4lessEEvPT1_PT2_T3_ ; -- Begin function _Z16sort_keys_valuesILj256ELj4EN10test_utils16custom_test_typeIiEENS1_IcEENS0_4lessEEvPT1_PT2_T3_
	.globl	_Z16sort_keys_valuesILj256ELj4EN10test_utils16custom_test_typeIiEENS1_IcEENS0_4lessEEvPT1_PT2_T3_
	.p2align	8
	.type	_Z16sort_keys_valuesILj256ELj4EN10test_utils16custom_test_typeIiEENS1_IcEENS0_4lessEEvPT1_PT2_T3_,@function
_Z16sort_keys_valuesILj256ELj4EN10test_utils16custom_test_typeIiEENS1_IcEENS0_4lessEEvPT1_PT2_T3_: ; @_Z16sort_keys_valuesILj256ELj4EN10test_utils16custom_test_typeIiEENS1_IcEENS0_4lessEEvPT1_PT2_T3_
; %bb.0:
	s_load_dwordx4 s[0:3], s[4:5], 0x0
	s_lshl_b32 s6, s6, 10
	s_mov_b32 s7, 0
	s_lshl_b64 s[4:5], s[6:7], 3
	v_lshlrev_b32_e32 v9, 5, v0
	s_waitcnt lgkmcnt(0)
	s_add_u32 s4, s0, s4
	s_addc_u32 s5, s1, s5
	s_lshl_b64 s[0:1], s[6:7], 1
	global_load_dwordx4 v[1:4], v9, s[4:5]
	s_add_u32 s6, s2, s0
	s_addc_u32 s7, s3, s1
	v_lshlrev_b32_e32 v10, 3, v0
	global_load_dwordx2 v[11:12], v10, s[6:7]
	global_load_dwordx4 v[5:8], v9, s[4:5] offset:16
	s_waitcnt vmcnt(2)
	v_cmp_eq_u32_e64 s[0:1], v3, v1
	v_cmp_lt_i32_e64 s[2:3], v4, v2
	v_cmp_lt_i32_e32 vcc, v3, v1
	v_mov_b32_e32 v14, v4
	s_and_b64 s[0:1], s[0:1], s[2:3]
	s_waitcnt vmcnt(1)
	v_lshrrev_b32_e32 v15, 16, v11
	v_lshrrev_b32_e32 v16, 24, v11
	v_mov_b32_e32 v13, v3
	v_lshrrev_b32_e32 v0, 8, v11
	s_or_b64 s[2:3], vcc, s[0:1]
	v_mov_b32_e32 v17, v15
	v_mov_b32_e32 v18, v16
	s_and_saveexec_b64 s[0:1], s[2:3]
; %bb.1:
	v_mov_b32_e32 v14, v2
	v_mov_b32_e32 v13, v1
	;; [unrolled: 1-line block ×8, first 2 shown]
; %bb.2:
	s_or_b64 exec, exec, s[0:1]
	s_waitcnt vmcnt(0)
	v_cmp_eq_u32_e64 s[0:1], v7, v5
	v_cmp_lt_i32_e64 s[2:3], v8, v6
	v_lshrrev_b32_e32 v20, 16, v12
	v_lshrrev_b32_e32 v21, 24, v12
	v_cmp_lt_i32_e32 vcc, v7, v5
	s_and_b64 s[0:1], s[0:1], s[2:3]
	v_mov_b32_e32 v16, v8
	v_lshrrev_b32_e32 v19, 8, v12
	s_or_b64 s[2:3], vcc, s[0:1]
	v_mov_b32_e32 v15, v7
	v_mov_b32_e32 v23, v20
	;; [unrolled: 1-line block ×5, first 2 shown]
	s_and_saveexec_b64 s[0:1], s[2:3]
	s_cbranch_execz .LBB17_4
; %bb.3:
	v_mov_b32_e32 v16, v6
	v_mov_b32_e32 v15, v5
	;; [unrolled: 1-line block ×10, first 2 shown]
.LBB17_4:
	s_or_b64 exec, exec, s[0:1]
	v_cmp_eq_u32_e64 s[0:1], v3, v13
	v_cmp_lt_i32_e64 s[2:3], v4, v14
	v_cmp_lt_i32_e32 vcc, v3, v13
	s_and_b64 s[0:1], s[0:1], s[2:3]
	s_or_b64 s[0:1], vcc, s[0:1]
	v_mov_b32_e32 v21, v12
	v_mov_b32_e32 v22, v19
	;; [unrolled: 1-line block ×4, first 2 shown]
	s_and_saveexec_b64 s[2:3], s[0:1]
	s_xor_b64 s[0:1], exec, s[2:3]
	s_cbranch_execz .LBB17_6
; %bb.5:
	v_mov_b32_e32 v5, v13
	v_mov_b32_e32 v6, v14
	;; [unrolled: 1-line block ×10, first 2 shown]
.LBB17_6:
	s_or_b64 exec, exec, s[0:1]
	v_cmp_eq_u32_e64 s[0:1], v7, v1
	v_cmp_lt_i32_e64 s[2:3], v8, v2
	v_cmp_lt_i32_e32 vcc, v7, v1
	s_and_b64 s[0:1], s[0:1], s[2:3]
	v_mov_b32_e32 v4, s5
	v_mov_b32_e32 v3, s7
	s_or_b64 s[2:3], vcc, s[0:1]
	v_mov_b32_e32 v12, v17
	v_mov_b32_e32 v25, v18
	s_and_saveexec_b64 s[0:1], s[2:3]
; %bb.7:
	v_mov_b32_e32 v14, v2
	v_mov_b32_e32 v13, v1
	;; [unrolled: 1-line block ×8, first 2 shown]
; %bb.8:
	s_or_b64 exec, exec, s[0:1]
	v_add_co_u32_e32 v19, vcc, s4, v9
	v_addc_co_u32_e32 v20, vcc, 0, v4, vcc
	v_add_co_u32_e32 v17, vcc, s6, v10
	v_addc_co_u32_e32 v18, vcc, 0, v3, vcc
	v_cmp_eq_u32_e64 s[0:1], v15, v5
	v_cmp_lt_i32_e64 s[2:3], v16, v6
	v_cmp_lt_i32_e32 vcc, v15, v5
	s_and_b64 s[0:1], s[0:1], s[2:3]
	v_mov_b32_e32 v9, v15
	s_or_b64 s[2:3], vcc, s[0:1]
	v_mov_b32_e32 v4, v6
	v_mov_b32_e32 v3, v5
	;; [unrolled: 1-line block ×5, first 2 shown]
	s_and_saveexec_b64 s[0:1], s[2:3]
	s_cbranch_execz .LBB17_10
; %bb.9:
	v_mov_b32_e32 v10, v6
	v_mov_b32_e32 v9, v5
	;; [unrolled: 1-line block ×10, first 2 shown]
.LBB17_10:
	s_or_b64 exec, exec, s[0:1]
	v_cmp_ne_u32_e64 s[0:1], v3, v13
	v_cmp_ge_i32_e64 s[2:3], v4, v14
	v_cmp_ge_i32_e32 vcc, v3, v13
	s_or_b64 s[0:1], s[0:1], s[2:3]
	s_and_b64 s[2:3], vcc, s[0:1]
	v_mov_b32_e32 v8, v14
	v_mov_b32_e32 v7, v13
	;; [unrolled: 1-line block ×4, first 2 shown]
	s_and_saveexec_b64 s[0:1], s[2:3]
; %bb.11:
	v_mov_b32_e32 v8, v6
	v_mov_b32_e32 v7, v5
	;; [unrolled: 1-line block ×8, first 2 shown]
; %bb.12:
	s_or_b64 exec, exec, s[0:1]
	s_mov_b32 s0, 0xc0c0004
	global_store_dwordx4 v[19:20], v[1:4], off
	global_store_dwordx4 v[19:20], v[7:10], off offset:16
	v_perm_b32 v1, v15, v16, s0
	v_perm_b32 v2, v26, v27, s0
	v_lshl_or_b32 v1, v2, 16, v1
	v_perm_b32 v0, v11, v0, s0
	v_perm_b32 v2, v21, v22, s0
	v_lshl_or_b32 v0, v2, 16, v0
	global_store_dwordx2 v[17:18], v[0:1], off
	s_endpgm
	.section	.rodata,"a",@progbits
	.p2align	6, 0x0
	.amdhsa_kernel _Z16sort_keys_valuesILj256ELj4EN10test_utils16custom_test_typeIiEENS1_IcEENS0_4lessEEvPT1_PT2_T3_
		.amdhsa_group_segment_fixed_size 0
		.amdhsa_private_segment_fixed_size 0
		.amdhsa_kernarg_size 20
		.amdhsa_user_sgpr_count 6
		.amdhsa_user_sgpr_private_segment_buffer 1
		.amdhsa_user_sgpr_dispatch_ptr 0
		.amdhsa_user_sgpr_queue_ptr 0
		.amdhsa_user_sgpr_kernarg_segment_ptr 1
		.amdhsa_user_sgpr_dispatch_id 0
		.amdhsa_user_sgpr_flat_scratch_init 0
		.amdhsa_user_sgpr_private_segment_size 0
		.amdhsa_uses_dynamic_stack 0
		.amdhsa_system_sgpr_private_segment_wavefront_offset 0
		.amdhsa_system_sgpr_workgroup_id_x 1
		.amdhsa_system_sgpr_workgroup_id_y 0
		.amdhsa_system_sgpr_workgroup_id_z 0
		.amdhsa_system_sgpr_workgroup_info 0
		.amdhsa_system_vgpr_workitem_id 0
		.amdhsa_next_free_vgpr 28
		.amdhsa_next_free_sgpr 8
		.amdhsa_reserve_vcc 1
		.amdhsa_reserve_flat_scratch 0
		.amdhsa_float_round_mode_32 0
		.amdhsa_float_round_mode_16_64 0
		.amdhsa_float_denorm_mode_32 3
		.amdhsa_float_denorm_mode_16_64 3
		.amdhsa_dx10_clamp 1
		.amdhsa_ieee_mode 1
		.amdhsa_fp16_overflow 0
		.amdhsa_exception_fp_ieee_invalid_op 0
		.amdhsa_exception_fp_denorm_src 0
		.amdhsa_exception_fp_ieee_div_zero 0
		.amdhsa_exception_fp_ieee_overflow 0
		.amdhsa_exception_fp_ieee_underflow 0
		.amdhsa_exception_fp_ieee_inexact 0
		.amdhsa_exception_int_div_zero 0
	.end_amdhsa_kernel
	.section	.text._Z16sort_keys_valuesILj256ELj4EN10test_utils16custom_test_typeIiEENS1_IcEENS0_4lessEEvPT1_PT2_T3_,"axG",@progbits,_Z16sort_keys_valuesILj256ELj4EN10test_utils16custom_test_typeIiEENS1_IcEENS0_4lessEEvPT1_PT2_T3_,comdat
.Lfunc_end17:
	.size	_Z16sort_keys_valuesILj256ELj4EN10test_utils16custom_test_typeIiEENS1_IcEENS0_4lessEEvPT1_PT2_T3_, .Lfunc_end17-_Z16sort_keys_valuesILj256ELj4EN10test_utils16custom_test_typeIiEENS1_IcEENS0_4lessEEvPT1_PT2_T3_
                                        ; -- End function
	.set _Z16sort_keys_valuesILj256ELj4EN10test_utils16custom_test_typeIiEENS1_IcEENS0_4lessEEvPT1_PT2_T3_.num_vgpr, 28
	.set _Z16sort_keys_valuesILj256ELj4EN10test_utils16custom_test_typeIiEENS1_IcEENS0_4lessEEvPT1_PT2_T3_.num_agpr, 0
	.set _Z16sort_keys_valuesILj256ELj4EN10test_utils16custom_test_typeIiEENS1_IcEENS0_4lessEEvPT1_PT2_T3_.numbered_sgpr, 8
	.set _Z16sort_keys_valuesILj256ELj4EN10test_utils16custom_test_typeIiEENS1_IcEENS0_4lessEEvPT1_PT2_T3_.num_named_barrier, 0
	.set _Z16sort_keys_valuesILj256ELj4EN10test_utils16custom_test_typeIiEENS1_IcEENS0_4lessEEvPT1_PT2_T3_.private_seg_size, 0
	.set _Z16sort_keys_valuesILj256ELj4EN10test_utils16custom_test_typeIiEENS1_IcEENS0_4lessEEvPT1_PT2_T3_.uses_vcc, 1
	.set _Z16sort_keys_valuesILj256ELj4EN10test_utils16custom_test_typeIiEENS1_IcEENS0_4lessEEvPT1_PT2_T3_.uses_flat_scratch, 0
	.set _Z16sort_keys_valuesILj256ELj4EN10test_utils16custom_test_typeIiEENS1_IcEENS0_4lessEEvPT1_PT2_T3_.has_dyn_sized_stack, 0
	.set _Z16sort_keys_valuesILj256ELj4EN10test_utils16custom_test_typeIiEENS1_IcEENS0_4lessEEvPT1_PT2_T3_.has_recursion, 0
	.set _Z16sort_keys_valuesILj256ELj4EN10test_utils16custom_test_typeIiEENS1_IcEENS0_4lessEEvPT1_PT2_T3_.has_indirect_call, 0
	.section	.AMDGPU.csdata,"",@progbits
; Kernel info:
; codeLenInByte = 772
; TotalNumSgprs: 12
; NumVgprs: 28
; ScratchSize: 0
; MemoryBound: 0
; FloatMode: 240
; IeeeMode: 1
; LDSByteSize: 0 bytes/workgroup (compile time only)
; SGPRBlocks: 1
; VGPRBlocks: 6
; NumSGPRsForWavesPerEU: 12
; NumVGPRsForWavesPerEU: 28
; Occupancy: 9
; WaveLimiterHint : 0
; COMPUTE_PGM_RSRC2:SCRATCH_EN: 0
; COMPUTE_PGM_RSRC2:USER_SGPR: 6
; COMPUTE_PGM_RSRC2:TRAP_HANDLER: 0
; COMPUTE_PGM_RSRC2:TGID_X_EN: 1
; COMPUTE_PGM_RSRC2:TGID_Y_EN: 0
; COMPUTE_PGM_RSRC2:TGID_Z_EN: 0
; COMPUTE_PGM_RSRC2:TIDIG_COMP_CNT: 0
	.section	.text._Z16sort_keys_valuesILj256ELj11EdxN10test_utils4lessEEvPT1_PT2_T3_,"axG",@progbits,_Z16sort_keys_valuesILj256ELj11EdxN10test_utils4lessEEvPT1_PT2_T3_,comdat
	.protected	_Z16sort_keys_valuesILj256ELj11EdxN10test_utils4lessEEvPT1_PT2_T3_ ; -- Begin function _Z16sort_keys_valuesILj256ELj11EdxN10test_utils4lessEEvPT1_PT2_T3_
	.globl	_Z16sort_keys_valuesILj256ELj11EdxN10test_utils4lessEEvPT1_PT2_T3_
	.p2align	8
	.type	_Z16sort_keys_valuesILj256ELj11EdxN10test_utils4lessEEvPT1_PT2_T3_,@function
_Z16sort_keys_valuesILj256ELj11EdxN10test_utils4lessEEvPT1_PT2_T3_: ; @_Z16sort_keys_valuesILj256ELj11EdxN10test_utils4lessEEvPT1_PT2_T3_
; %bb.0:
	s_load_dwordx4 s[0:3], s[4:5], 0x0
	s_mul_i32 s4, s6, 0xb00
	s_mov_b32 s5, 0
	s_lshl_b64 s[4:5], s[4:5], 3
	v_mul_u32_u24_e32 v0, 11, v0
	s_waitcnt lgkmcnt(0)
	s_add_u32 s6, s0, s4
	s_addc_u32 s7, s1, s5
	v_lshlrev_b32_e32 v80, 3, v0
	global_load_dwordx4 v[2:5], v80, s[6:7]
	s_add_u32 s8, s2, s4
	s_addc_u32 s9, s3, s5
	global_load_dwordx4 v[74:77], v80, s[8:9]
	global_load_dwordx4 v[30:33], v80, s[6:7] offset:16
	global_load_dwordx2 v[72:73], v80, s[6:7] offset:80
	global_load_dwordx2 v[40:41], v80, s[8:9] offset:80
	global_load_dwordx4 v[14:17], v80, s[8:9] offset:16
	global_load_dwordx4 v[26:29], v80, s[6:7] offset:48
	global_load_dwordx4 v[34:37], v80, s[6:7] offset:32
	global_load_dwordx4 v[22:25], v80, s[6:7] offset:64
	global_load_dwordx4 v[10:13], v80, s[8:9] offset:48
	global_load_dwordx4 v[18:21], v80, s[8:9] offset:32
	global_load_dwordx4 v[6:9], v80, s[8:9] offset:64
	s_waitcnt vmcnt(10)
	v_mov_b32_e32 v79, v75
	v_cmp_lt_f64_e32 vcc, v[4:5], v[2:3]
	v_mov_b32_e32 v53, v3
	v_mov_b32_e32 v55, v5
	;; [unrolled: 1-line block ×7, first 2 shown]
	s_and_saveexec_b64 s[0:1], vcc
	s_cbranch_execz .LBB18_2
; %bb.1:
	v_mov_b32_e32 v51, v5
	v_mov_b32_e32 v0, v4
	;; [unrolled: 1-line block ×16, first 2 shown]
.LBB18_2:
	s_or_b64 exec, exec, s[0:1]
	s_waitcnt vmcnt(9)
	v_cmp_lt_f64_e32 vcc, v[32:33], v[30:31]
	s_waitcnt vmcnt(4)
	v_cmp_lt_f64_e64 s[0:1], v[36:37], v[34:35]
	v_cmp_lt_f64_e64 s[2:3], v[28:29], v[26:27]
	s_waitcnt vmcnt(3)
	v_cmp_lt_f64_e64 s[4:5], v[24:25], v[22:23]
	v_cndmask_b32_e32 v57, v31, v33, vcc
	v_cndmask_b32_e32 v56, v30, v32, vcc
	;; [unrolled: 1-line block ×8, first 2 shown]
	v_cmp_lt_f64_e32 vcc, v[56:57], v[4:5]
	v_cndmask_b32_e64 v63, v37, v35, s[0:1]
	v_cndmask_b32_e64 v62, v36, v34, s[0:1]
	;; [unrolled: 1-line block ×12, first 2 shown]
	s_waitcnt vmcnt(1)
	v_cndmask_b32_e64 v83, v19, v21, s[0:1]
	v_cndmask_b32_e64 v82, v18, v20, s[0:1]
	;; [unrolled: 1-line block ×8, first 2 shown]
	s_waitcnt vmcnt(0)
	v_cndmask_b32_e64 v87, v9, v7, s[4:5]
	v_cndmask_b32_e64 v86, v8, v6, s[4:5]
	;; [unrolled: 1-line block ×4, first 2 shown]
	v_mov_b32_e32 v42, v56
	v_mov_b32_e32 v6, v52
	;; [unrolled: 1-line block ×34, first 2 shown]
	s_and_saveexec_b64 s[0:1], vcc
	s_xor_b64 s[0:1], exec, s[0:1]
	s_cbranch_execz .LBB18_4
; %bb.3:
	v_mov_b32_e32 v54, v76
	v_mov_b32_e32 v6, v58
	;; [unrolled: 1-line block ×62, first 2 shown]
.LBB18_4:
	s_or_b64 exec, exec, s[0:1]
	v_cmp_lt_f64_e32 vcc, v[26:27], v[24:25]
	v_cmp_lt_f64_e64 s[0:1], v[14:15], v[12:13]
	v_cmp_lt_f64_e64 s[2:3], v[18:19], v[16:17]
	v_cmp_lt_f64_e64 s[4:5], v[22:23], v[20:21]
	v_cndmask_b32_e32 v69, v27, v25, vcc
	v_cndmask_b32_e32 v44, v41, v87, vcc
	;; [unrolled: 1-line block ×8, first 2 shown]
	v_cmp_lt_f64_e32 vcc, v[4:5], v[50:51]
	v_cndmask_b32_e64 v57, v15, v13, s[0:1]
	v_cndmask_b32_e64 v0, v81, v83, s[0:1]
	;; [unrolled: 1-line block ×16, first 2 shown]
	v_mov_b32_e32 v46, v50
	v_cndmask_b32_e64 v74, v45, v84, s[4:5]
	v_cndmask_b32_e64 v45, v84, v45, s[4:5]
	;; [unrolled: 1-line block ×8, first 2 shown]
	v_mov_b32_e32 v14, v56
	v_mov_b32_e32 v15, v57
	;; [unrolled: 1-line block ×9, first 2 shown]
	s_and_saveexec_b64 s[0:1], vcc
	s_cbranch_execz .LBB18_6
; %bb.5:
	v_mov_b32_e32 v2, v78
	v_mov_b32_e32 v48, v4
	;; [unrolled: 1-line block ×54, first 2 shown]
.LBB18_6:
	s_or_b64 exec, exec, s[0:1]
	v_cmp_lt_f64_e32 vcc, v[12:13], v[42:43]
	v_cmp_lt_f64_e64 s[0:1], v[16:17], v[14:15]
	v_cmp_lt_f64_e64 s[2:3], v[20:21], v[18:19]
	;; [unrolled: 1-line block ×3, first 2 shown]
	v_cndmask_b32_e32 v3, v39, v0, vcc
	v_cndmask_b32_e32 v2, v38, v1, vcc
	;; [unrolled: 1-line block ×10, first 2 shown]
	v_cmp_lt_f64_e32 vcc, v[0:1], v[4:5]
	v_cndmask_b32_e64 v51, v17, v15, s[0:1]
	v_cndmask_b32_e64 v52, v21, v19, s[2:3]
	;; [unrolled: 1-line block ×8, first 2 shown]
	v_mov_b32_e32 v39, v1
	v_cndmask_b32_e64 v37, v83, v86, s[0:1]
	v_cndmask_b32_e64 v35, v86, v83, s[0:1]
	;; [unrolled: 1-line block ×16, first 2 shown]
	v_mov_b32_e32 v12, v50
	v_mov_b32_e32 v13, v49
	;; [unrolled: 1-line block ×9, first 2 shown]
	s_and_saveexec_b64 s[0:1], vcc
	s_cbranch_execz .LBB18_8
; %bb.7:
	v_mov_b32_e32 v12, v50
	v_mov_b32_e32 v13, v49
	;; [unrolled: 1-line block ×22, first 2 shown]
.LBB18_8:
	s_or_b64 exec, exec, s[0:1]
	v_cmp_lt_f64_e32 vcc, v[14:15], v[12:13]
	v_cmp_lt_f64_e64 s[0:1], v[18:19], v[16:17]
	v_cmp_lt_f64_e64 s[2:3], v[22:23], v[20:21]
	;; [unrolled: 1-line block ×3, first 2 shown]
	v_cndmask_b32_e32 v53, v15, v13, vcc
	v_cndmask_b32_e32 v83, v29, v37, vcc
	;; [unrolled: 1-line block ×8, first 2 shown]
	v_cmp_lt_f64_e32 vcc, v[4:5], v[46:47]
	v_cndmask_b32_e64 v57, v19, v17, s[0:1]
	v_cndmask_b32_e64 v81, v33, v42, s[0:1]
	;; [unrolled: 1-line block ×8, first 2 shown]
	v_mov_b32_e32 v42, v46
	v_cndmask_b32_e64 v74, v35, v36, s[0:1]
	v_cndmask_b32_e64 v71, v36, v35, s[0:1]
	v_cndmask_b32_e64 v73, v34, v48, s[2:3]
	v_cndmask_b32_e64 v68, v48, v34, s[2:3]
	v_cndmask_b32_e64 v75, v32, v40, s[2:3]
	v_cndmask_b32_e64 v66, v40, v32, s[2:3]
	v_cndmask_b32_e64 v40, v44, v30, s[4:5]
	v_cndmask_b32_e64 v82, v30, v44, s[4:5]
	v_cndmask_b32_e64 v67, v41, v31, s[4:5]
	v_cndmask_b32_e64 v41, v31, v41, s[4:5]
	v_cndmask_b32_e64 v17, v17, v19, s[0:1]
	v_cndmask_b32_e64 v16, v16, v18, s[0:1]
	v_cndmask_b32_e64 v21, v21, v23, s[2:3]
	v_cndmask_b32_e64 v20, v20, v22, s[2:3]
	v_cndmask_b32_e64 v25, v25, v27, s[4:5]
	v_cndmask_b32_e64 v24, v24, v26, s[4:5]
	v_mov_b32_e32 v14, v52
	v_mov_b32_e32 v15, v53
	;; [unrolled: 1-line block ×9, first 2 shown]
	s_and_saveexec_b64 s[0:1], vcc
	s_cbranch_execz .LBB18_10
; %bb.9:
	v_mov_b32_e32 v0, v78
	v_mov_b32_e32 v44, v4
	;; [unrolled: 1-line block ×54, first 2 shown]
.LBB18_10:
	s_or_b64 exec, exec, s[0:1]
	v_cmp_lt_f64_e32 vcc, v[12:13], v[38:39]
	v_cmp_lt_f64_e64 s[0:1], v[16:17], v[14:15]
	v_cmp_lt_f64_e64 s[2:3], v[20:21], v[18:19]
	;; [unrolled: 1-line block ×3, first 2 shown]
	v_cndmask_b32_e32 v29, v39, v13, vcc
	v_cndmask_b32_e32 v28, v38, v12, vcc
	;; [unrolled: 1-line block ×10, first 2 shown]
	v_cmp_lt_f64_e32 vcc, v[28:29], v[4:5]
	v_cndmask_b32_e64 v49, v17, v15, s[0:1]
	v_cndmask_b32_e64 v50, v21, v19, s[2:3]
	;; [unrolled: 1-line block ×6, first 2 shown]
	v_mov_b32_e32 v2, v28
	v_cndmask_b32_e64 v39, v72, v74, s[0:1]
	v_cndmask_b32_e64 v37, v74, v72, s[0:1]
	;; [unrolled: 1-line block ×18, first 2 shown]
	v_mov_b32_e32 v12, v48
	v_mov_b32_e32 v13, v47
	;; [unrolled: 1-line block ×9, first 2 shown]
	s_and_saveexec_b64 s[0:1], vcc
	s_cbranch_execz .LBB18_12
; %bb.11:
	v_mov_b32_e32 v12, v48
	v_mov_b32_e32 v13, v47
	;; [unrolled: 1-line block ×22, first 2 shown]
.LBB18_12:
	s_or_b64 exec, exec, s[0:1]
	v_cmp_lt_f64_e32 vcc, v[14:15], v[12:13]
	v_cmp_lt_f64_e64 s[0:1], v[18:19], v[16:17]
	v_cmp_lt_f64_e64 s[2:3], v[22:23], v[20:21]
	;; [unrolled: 1-line block ×3, first 2 shown]
	v_cndmask_b32_e32 v49, v15, v13, vcc
	v_cndmask_b32_e32 v81, v31, v39, vcc
	;; [unrolled: 1-line block ×8, first 2 shown]
	v_cmp_lt_f64_e32 vcc, v[4:5], v[42:43]
	v_cndmask_b32_e64 v53, v19, v17, s[0:1]
	v_cndmask_b32_e64 v72, v37, v38, s[0:1]
	;; [unrolled: 1-line block ×8, first 2 shown]
	v_mov_b32_e32 v38, v42
	v_cndmask_b32_e64 v74, v35, v44, s[0:1]
	v_cndmask_b32_e64 v64, v44, v35, s[0:1]
	;; [unrolled: 1-line block ×16, first 2 shown]
	v_mov_b32_e32 v14, v48
	v_mov_b32_e32 v15, v49
	;; [unrolled: 1-line block ×9, first 2 shown]
	s_and_saveexec_b64 s[0:1], vcc
	s_cbranch_execz .LBB18_14
; %bb.13:
	v_mov_b32_e32 v84, v79
	v_mov_b32_e32 v40, v4
	;; [unrolled: 1-line block ×54, first 2 shown]
.LBB18_14:
	s_or_b64 exec, exec, s[0:1]
	v_cmp_lt_f64_e32 vcc, v[12:13], v[2:3]
	v_cmp_lt_f64_e64 s[0:1], v[16:17], v[14:15]
	v_cmp_lt_f64_e64 s[2:3], v[20:21], v[18:19]
	;; [unrolled: 1-line block ×3, first 2 shown]
	v_mov_b32_e32 v46, s7
	v_mov_b32_e32 v45, s9
	v_cndmask_b32_e32 v59, v1, v81, vcc
	v_cndmask_b32_e32 v58, v0, v82, vcc
	;; [unrolled: 1-line block ×10, first 2 shown]
	v_cmp_lt_f64_e32 vcc, v[0:1], v[4:5]
	v_cndmask_b32_e64 v3, v17, v15, s[0:1]
	v_cndmask_b32_e64 v47, v21, v19, s[2:3]
	;; [unrolled: 1-line block ×10, first 2 shown]
	v_mov_b32_e32 v63, v1
	v_cndmask_b32_e64 v37, v70, v72, s[0:1]
	v_cndmask_b32_e64 v35, v72, v70, s[0:1]
	;; [unrolled: 1-line block ×14, first 2 shown]
	v_mov_b32_e32 v12, v2
	v_mov_b32_e32 v13, v44
	;; [unrolled: 1-line block ×9, first 2 shown]
	s_and_saveexec_b64 s[0:1], vcc
	s_cbranch_execz .LBB18_16
; %bb.15:
	v_mov_b32_e32 v12, v2
	v_mov_b32_e32 v17, v3
	;; [unrolled: 1-line block ×22, first 2 shown]
.LBB18_16:
	s_or_b64 exec, exec, s[0:1]
	v_add_co_u32_e32 v2, vcc, s6, v80
	v_addc_co_u32_e32 v3, vcc, 0, v46, vcc
	v_add_co_u32_e32 v0, vcc, s8, v80
	v_addc_co_u32_e32 v1, vcc, 0, v45, vcc
	v_cmp_lt_f64_e32 vcc, v[14:15], v[12:13]
	v_cmp_lt_f64_e64 s[0:1], v[18:19], v[16:17]
	v_cmp_lt_f64_e64 s[2:3], v[22:23], v[20:21]
	v_cmp_lt_f64_e64 s[4:5], v[26:27], v[24:25]
	v_mov_b32_e32 v61, v39
	v_mov_b32_e32 v60, v38
	v_cndmask_b32_e32 v45, v15, v13, vcc
	v_cndmask_b32_e32 v82, v29, v37, vcc
	;; [unrolled: 1-line block ×8, first 2 shown]
	v_cmp_lt_f64_e32 vcc, v[4:5], v[38:39]
	v_cndmask_b32_e64 v49, v19, v17, s[0:1]
	v_cndmask_b32_e64 v53, v23, v21, s[2:3]
	;; [unrolled: 1-line block ×24, first 2 shown]
	v_mov_b32_e32 v14, v44
	v_mov_b32_e32 v15, v45
	;; [unrolled: 1-line block ×8, first 2 shown]
	s_and_saveexec_b64 s[0:1], vcc
	s_cbranch_execz .LBB18_18
; %bb.17:
	v_mov_b32_e32 v85, v79
	v_mov_b32_e32 v36, v4
	;; [unrolled: 1-line block ×54, first 2 shown]
.LBB18_18:
	s_or_b64 exec, exec, s[0:1]
	v_cmp_lt_f64_e32 vcc, v[12:13], v[62:63]
	v_cmp_lt_f64_e64 s[0:1], v[16:17], v[14:15]
	v_cmp_lt_f64_e64 s[2:3], v[20:21], v[18:19]
	;; [unrolled: 1-line block ×3, first 2 shown]
	v_cndmask_b32_e32 v33, v63, v13, vcc
	v_cndmask_b32_e32 v32, v62, v12, vcc
	;; [unrolled: 1-line block ×10, first 2 shown]
	v_cmp_lt_f64_e32 vcc, v[32:33], v[4:5]
	v_cndmask_b32_e64 v50, v17, v15, s[0:1]
	v_cndmask_b32_e64 v51, v21, v19, s[2:3]
	;; [unrolled: 1-line block ×6, first 2 shown]
	v_mov_b32_e32 v30, v32
	v_cndmask_b32_e64 v37, v72, v74, s[0:1]
	v_cndmask_b32_e64 v36, v74, v72, s[0:1]
	;; [unrolled: 1-line block ×18, first 2 shown]
	v_mov_b32_e32 v12, v49
	v_mov_b32_e32 v13, v48
	;; [unrolled: 1-line block ×9, first 2 shown]
	s_and_saveexec_b64 s[0:1], vcc
	s_cbranch_execz .LBB18_20
; %bb.19:
	v_mov_b32_e32 v12, v49
	v_mov_b32_e32 v13, v48
	;; [unrolled: 1-line block ×22, first 2 shown]
.LBB18_20:
	s_or_b64 exec, exec, s[0:1]
	v_cmp_lt_f64_e64 s[0:1], v[14:15], v[12:13]
	v_cmp_lt_f64_e32 vcc, v[4:5], v[60:61]
	v_cmp_lt_f64_e64 s[2:3], v[18:19], v[16:17]
	v_cmp_lt_f64_e64 s[6:7], v[26:27], v[24:25]
	;; [unrolled: 1-line block ×3, first 2 shown]
	v_cndmask_b32_e64 v33, v13, v15, s[0:1]
	v_cndmask_b32_e64 v32, v12, v14, s[0:1]
	v_cndmask_b32_e32 v7, v7, v5, vcc
	v_cndmask_b32_e32 v6, v6, v4, vcc
	v_cndmask_b32_e64 v5, v15, v13, s[0:1]
	v_cndmask_b32_e64 v4, v14, v12, s[0:1]
	;; [unrolled: 1-line block ×4, first 2 shown]
	v_cmp_lt_f64_e64 s[8:9], v[32:33], v[30:31]
	v_cndmask_b32_e64 v49, v19, v17, s[2:3]
	v_cndmask_b32_e64 v48, v18, v16, s[2:3]
	v_cndmask_b32_e64 v57, v27, v25, s[6:7]
	v_cndmask_b32_e64 v56, v26, v24, s[6:7]
	v_cndmask_b32_e64 v59, v25, v27, s[6:7]
	v_cndmask_b32_e64 v58, v24, v26, s[6:7]
	v_cndmask_b32_e64 v26, v39, v35, s[0:1]
	v_cndmask_b32_e64 v27, v37, v34, s[0:1]
	v_cndmask_b32_e64 v18, v35, v39, s[0:1]
	v_cndmask_b32_e64 v19, v34, v37, s[0:1]
	v_cmp_lt_f64_e64 s[0:1], v[50:51], v[4:5]
	v_cndmask_b32_e64 v53, v23, v21, s[4:5]
	v_cndmask_b32_e64 v52, v22, v20, s[4:5]
	;; [unrolled: 1-line block ×8, first 2 shown]
	v_cndmask_b32_e32 v9, v9, v61, vcc
	v_cndmask_b32_e32 v8, v8, v60, vcc
	;; [unrolled: 1-line block ×6, first 2 shown]
	v_cndmask_b32_e64 v21, v19, v29, s[8:9]
	v_cndmask_b32_e64 v20, v18, v28, s[8:9]
	v_cndmask_b32_e64 v19, v29, v19, s[8:9]
	v_cndmask_b32_e64 v18, v28, v18, s[8:9]
	v_cndmask_b32_e64 v25, v51, v5, s[0:1]
	v_cndmask_b32_e64 v24, v50, v4, s[0:1]
	v_cmp_lt_f64_e32 vcc, v[54:55], v[48:49]
	v_cndmask_b32_e64 v23, v5, v51, s[0:1]
	v_cndmask_b32_e64 v22, v4, v50, s[0:1]
	;; [unrolled: 1-line block ×6, first 2 shown]
	v_cmp_lt_f64_e64 s[0:1], v[58:59], v[52:53]
	v_cndmask_b32_e64 v34, v43, v38, s[2:3]
	v_cndmask_b32_e64 v35, v41, v36, s[2:3]
	;; [unrolled: 1-line block ×12, first 2 shown]
	v_cndmask_b32_e32 v33, v55, v49, vcc
	v_cndmask_b32_e32 v32, v54, v48, vcc
	;; [unrolled: 1-line block ×8, first 2 shown]
	v_cndmask_b32_e64 v41, v59, v53, s[0:1]
	v_cndmask_b32_e64 v40, v58, v52, s[0:1]
	;; [unrolled: 1-line block ×8, first 2 shown]
	global_store_dwordx4 v[2:3], v[6:9], off
	global_store_dwordx4 v[2:3], v[10:13], off offset:16
	global_store_dwordx4 v[2:3], v[22:25], off offset:32
	;; [unrolled: 1-line block ×4, first 2 shown]
	global_store_dwordx2 v[2:3], v[56:57], off offset:80
	global_store_dwordx4 v[0:1], v[14:17], off
	global_store_dwordx4 v[0:1], v[18:21], off offset:16
	global_store_dwordx4 v[0:1], v[26:29], off offset:32
	;; [unrolled: 1-line block ×4, first 2 shown]
	global_store_dwordx2 v[0:1], v[46:47], off offset:80
	s_endpgm
	.section	.rodata,"a",@progbits
	.p2align	6, 0x0
	.amdhsa_kernel _Z16sort_keys_valuesILj256ELj11EdxN10test_utils4lessEEvPT1_PT2_T3_
		.amdhsa_group_segment_fixed_size 0
		.amdhsa_private_segment_fixed_size 0
		.amdhsa_kernarg_size 20
		.amdhsa_user_sgpr_count 6
		.amdhsa_user_sgpr_private_segment_buffer 1
		.amdhsa_user_sgpr_dispatch_ptr 0
		.amdhsa_user_sgpr_queue_ptr 0
		.amdhsa_user_sgpr_kernarg_segment_ptr 1
		.amdhsa_user_sgpr_dispatch_id 0
		.amdhsa_user_sgpr_flat_scratch_init 0
		.amdhsa_user_sgpr_private_segment_size 0
		.amdhsa_uses_dynamic_stack 0
		.amdhsa_system_sgpr_private_segment_wavefront_offset 0
		.amdhsa_system_sgpr_workgroup_id_x 1
		.amdhsa_system_sgpr_workgroup_id_y 0
		.amdhsa_system_sgpr_workgroup_id_z 0
		.amdhsa_system_sgpr_workgroup_info 0
		.amdhsa_system_vgpr_workitem_id 0
		.amdhsa_next_free_vgpr 88
		.amdhsa_next_free_sgpr 10
		.amdhsa_reserve_vcc 1
		.amdhsa_reserve_flat_scratch 0
		.amdhsa_float_round_mode_32 0
		.amdhsa_float_round_mode_16_64 0
		.amdhsa_float_denorm_mode_32 3
		.amdhsa_float_denorm_mode_16_64 3
		.amdhsa_dx10_clamp 1
		.amdhsa_ieee_mode 1
		.amdhsa_fp16_overflow 0
		.amdhsa_exception_fp_ieee_invalid_op 0
		.amdhsa_exception_fp_denorm_src 0
		.amdhsa_exception_fp_ieee_div_zero 0
		.amdhsa_exception_fp_ieee_overflow 0
		.amdhsa_exception_fp_ieee_underflow 0
		.amdhsa_exception_fp_ieee_inexact 0
		.amdhsa_exception_int_div_zero 0
	.end_amdhsa_kernel
	.section	.text._Z16sort_keys_valuesILj256ELj11EdxN10test_utils4lessEEvPT1_PT2_T3_,"axG",@progbits,_Z16sort_keys_valuesILj256ELj11EdxN10test_utils4lessEEvPT1_PT2_T3_,comdat
.Lfunc_end18:
	.size	_Z16sort_keys_valuesILj256ELj11EdxN10test_utils4lessEEvPT1_PT2_T3_, .Lfunc_end18-_Z16sort_keys_valuesILj256ELj11EdxN10test_utils4lessEEvPT1_PT2_T3_
                                        ; -- End function
	.set _Z16sort_keys_valuesILj256ELj11EdxN10test_utils4lessEEvPT1_PT2_T3_.num_vgpr, 88
	.set _Z16sort_keys_valuesILj256ELj11EdxN10test_utils4lessEEvPT1_PT2_T3_.num_agpr, 0
	.set _Z16sort_keys_valuesILj256ELj11EdxN10test_utils4lessEEvPT1_PT2_T3_.numbered_sgpr, 10
	.set _Z16sort_keys_valuesILj256ELj11EdxN10test_utils4lessEEvPT1_PT2_T3_.num_named_barrier, 0
	.set _Z16sort_keys_valuesILj256ELj11EdxN10test_utils4lessEEvPT1_PT2_T3_.private_seg_size, 0
	.set _Z16sort_keys_valuesILj256ELj11EdxN10test_utils4lessEEvPT1_PT2_T3_.uses_vcc, 1
	.set _Z16sort_keys_valuesILj256ELj11EdxN10test_utils4lessEEvPT1_PT2_T3_.uses_flat_scratch, 0
	.set _Z16sort_keys_valuesILj256ELj11EdxN10test_utils4lessEEvPT1_PT2_T3_.has_dyn_sized_stack, 0
	.set _Z16sort_keys_valuesILj256ELj11EdxN10test_utils4lessEEvPT1_PT2_T3_.has_recursion, 0
	.set _Z16sort_keys_valuesILj256ELj11EdxN10test_utils4lessEEvPT1_PT2_T3_.has_indirect_call, 0
	.section	.AMDGPU.csdata,"",@progbits
; Kernel info:
; codeLenInByte = 5352
; TotalNumSgprs: 14
; NumVgprs: 88
; ScratchSize: 0
; MemoryBound: 1
; FloatMode: 240
; IeeeMode: 1
; LDSByteSize: 0 bytes/workgroup (compile time only)
; SGPRBlocks: 1
; VGPRBlocks: 21
; NumSGPRsForWavesPerEU: 14
; NumVGPRsForWavesPerEU: 88
; Occupancy: 2
; WaveLimiterHint : 0
; COMPUTE_PGM_RSRC2:SCRATCH_EN: 0
; COMPUTE_PGM_RSRC2:USER_SGPR: 6
; COMPUTE_PGM_RSRC2:TRAP_HANDLER: 0
; COMPUTE_PGM_RSRC2:TGID_X_EN: 1
; COMPUTE_PGM_RSRC2:TGID_Y_EN: 0
; COMPUTE_PGM_RSRC2:TGID_Z_EN: 0
; COMPUTE_PGM_RSRC2:TIDIG_COMP_CNT: 0
	.section	.text._Z16sort_keys_valuesILj256ELj10EhiN10test_utils4lessEEvPT1_PT2_T3_,"axG",@progbits,_Z16sort_keys_valuesILj256ELj10EhiN10test_utils4lessEEvPT1_PT2_T3_,comdat
	.protected	_Z16sort_keys_valuesILj256ELj10EhiN10test_utils4lessEEvPT1_PT2_T3_ ; -- Begin function _Z16sort_keys_valuesILj256ELj10EhiN10test_utils4lessEEvPT1_PT2_T3_
	.globl	_Z16sort_keys_valuesILj256ELj10EhiN10test_utils4lessEEvPT1_PT2_T3_
	.p2align	8
	.type	_Z16sort_keys_valuesILj256ELj10EhiN10test_utils4lessEEvPT1_PT2_T3_,@function
_Z16sort_keys_valuesILj256ELj10EhiN10test_utils4lessEEvPT1_PT2_T3_: ; @_Z16sort_keys_valuesILj256ELj10EhiN10test_utils4lessEEvPT1_PT2_T3_
; %bb.0:
	s_load_dwordx4 s[0:3], s[4:5], 0x0
	s_mul_i32 s4, s6, 0xa00
	v_mul_u32_u24_e32 v0, 10, v0
	s_mov_b32 s5, 0
	v_lshlrev_b32_e32 v1, 2, v0
	s_waitcnt lgkmcnt(0)
	s_add_u32 s14, s0, s4
	s_addc_u32 s15, s1, 0
	global_load_dwordx2 v[10:11], v0, s[14:15]
	s_lshl_b64 s[0:1], s[4:5], 2
	s_add_u32 s16, s2, s0
	s_addc_u32 s17, s3, s1
	global_load_dwordx4 v[2:5], v1, s[16:17]
	global_load_ushort v14, v0, s[14:15] offset:8
	global_load_dwordx4 v[6:9], v1, s[16:17] offset:16
	global_load_dwordx2 v[12:13], v1, s[16:17] offset:32
	s_mov_b32 s20, 0xc0c0001
	s_mov_b32 s12, 0x7060405
	s_movk_i32 s19, 0xff
	s_mov_b32 s18, 0xffff
	s_mov_b32 s13, 0x6070504
	;; [unrolled: 1-line block ×5, first 2 shown]
	s_waitcnt vmcnt(4)
	v_lshrrev_b32_e32 v16, 8, v10
	v_perm_b32 v15, 0, v10, s20
	v_lshrrev_b32_e32 v17, 16, v10
	v_cmp_lt_u16_sdwa vcc, v16, v10 src0_sel:BYTE_0 src1_sel:BYTE_0
	v_cndmask_b32_e32 v15, v10, v15, vcc
	s_waitcnt vmcnt(3)
	v_cndmask_b32_e32 v16, v2, v3, vcc
	v_cndmask_b32_e32 v2, v3, v2, vcc
	v_cmp_lt_u16_sdwa vcc, v10, v17 src0_sel:BYTE_3 src1_sel:BYTE_0
	v_cndmask_b32_e32 v3, v5, v4, vcc
	v_cndmask_b32_e32 v4, v4, v5, vcc
	v_mov_b32_e32 v5, 0x5040100
	s_waitcnt vmcnt(2)
	v_perm_b32 v5, s0, v14, v5
	v_lshrrev_b32_e32 v19, 8, v5
	v_cmp_lt_u16_sdwa s[0:1], v19, v14 src0_sel:BYTE_0 src1_sel:BYTE_0
	v_lshrrev_b32_e32 v19, 8, v11
	v_perm_b32 v18, v11, v11, s12
	v_perm_b32 v17, 0, v17, s20
	v_cmp_lt_u16_sdwa s[2:3], v19, v11 src0_sel:BYTE_0 src1_sel:BYTE_0
	v_cndmask_b32_e64 v11, v11, v18, s[2:3]
	v_lshlrev_b32_e32 v17, 16, v17
	v_perm_b32 v14, 0, v14, s20
	s_waitcnt vmcnt(1)
	v_cndmask_b32_e64 v19, v7, v6, s[2:3]
	v_bfi_b32 v10, s18, v15, v10
	v_cndmask_b32_e64 v6, v6, v7, s[2:3]
	v_and_or_b32 v7, v15, s18, v17
	s_waitcnt vmcnt(0)
	v_cndmask_b32_e64 v15, v13, v12, s[0:1]
	v_cndmask_b32_e64 v12, v12, v13, s[0:1]
	v_and_b32_sdwa v13, v11, s19 dst_sel:DWORD dst_unused:UNUSED_PAD src0_sel:WORD_1 src1_sel:DWORD
	v_cndmask_b32_e64 v5, v5, v14, s[0:1]
	v_perm_b32 v14, v11, v11, s13
	v_cndmask_b32_e32 v7, v10, v7, vcc
	v_cmp_lt_u16_sdwa vcc, v11, v13 src0_sel:BYTE_3 src1_sel:DWORD
	v_cndmask_b32_e32 v11, v11, v14, vcc
	v_and_b32_sdwa v14, v7, s19 dst_sel:DWORD dst_unused:UNUSED_PAD src0_sel:WORD_1 src1_sel:DWORD
	v_lshrrev_b32_e32 v17, 8, v7
	v_cndmask_b32_e32 v10, v9, v8, vcc
	v_cndmask_b32_e32 v8, v8, v9, vcc
	v_perm_b32 v18, v7, v7, s21
	v_cmp_lt_u16_sdwa vcc, v14, v17 src0_sel:DWORD src1_sel:BYTE_0
	v_cndmask_b32_e32 v14, v4, v2, vcc
	v_cndmask_b32_e32 v2, v2, v4, vcc
	;; [unrolled: 1-line block ×3, first 2 shown]
	v_lshlrev_b16_e32 v17, 8, v11
	v_perm_b32 v7, v4, v11, s22
	v_and_b32_sdwa v18, v4, s19 dst_sel:DWORD dst_unused:UNUSED_PAD src0_sel:WORD_1 src1_sel:DWORD
	v_cmp_lt_u16_sdwa vcc, v11, v4 src0_sel:BYTE_0 src1_sel:BYTE_3
	v_or_b32_sdwa v17, v18, v17 dst_sel:WORD_1 dst_unused:UNUSED_PAD src0_sel:DWORD src1_sel:DWORD
	v_cndmask_b32_e32 v18, v6, v3, vcc
	v_cndmask_b32_e32 v3, v3, v6, vcc
	;; [unrolled: 1-line block ×3, first 2 shown]
	v_and_or_b32 v7, v4, s18, v17
	v_and_b32_sdwa v11, v6, s19 dst_sel:DWORD dst_unused:UNUSED_PAD src0_sel:WORD_1 src1_sel:DWORD
	v_lshrrev_b32_e32 v17, 8, v6
	v_cndmask_b32_e32 v4, v4, v7, vcc
	v_perm_b32 v7, v6, v6, s21
	v_cmp_lt_u16_sdwa vcc, v11, v17 src0_sel:DWORD src1_sel:BYTE_0
	v_cndmask_b32_e32 v6, v6, v7, vcc
	v_perm_b32 v7, 0, v4, s20
	v_lshrrev_b32_e32 v17, 8, v4
	v_lshlrev_b16_e32 v9, 8, v5
	v_cndmask_b32_e32 v11, v8, v19, vcc
	v_cndmask_b32_e32 v8, v19, v8, vcc
	v_and_b32_sdwa v19, v6, s19 dst_sel:DWORD dst_unused:UNUSED_PAD src0_sel:WORD_1 src1_sel:DWORD
	v_and_or_b32 v7, v4, s8, v7
	v_cmp_lt_u16_sdwa s[0:1], v17, v4 src0_sel:BYTE_0 src1_sel:BYTE_0
	v_or_b32_sdwa v9, v19, v9 dst_sel:WORD_1 dst_unused:UNUSED_PAD src0_sel:DWORD src1_sel:DWORD
	v_cndmask_b32_e64 v4, v4, v7, s[0:1]
	v_and_b32_e32 v13, 0xffffff00, v5
	v_cmp_lt_u16_sdwa vcc, v5, v6 src0_sel:BYTE_0 src1_sel:BYTE_3
	v_and_or_b32 v7, v6, s18, v9
	v_lshrrev_b32_e32 v9, 16, v4
	v_or_b32_sdwa v13, v6, v13 dst_sel:DWORD dst_unused:UNUSED_PAD src0_sel:BYTE_3 src1_sel:DWORD
	v_cndmask_b32_e32 v6, v6, v7, vcc
	v_perm_b32 v7, 0, v9, s20
	v_cndmask_b32_e32 v19, v12, v10, vcc
	v_cndmask_b32_e32 v10, v10, v12, vcc
	v_and_b32_e32 v12, 0xffff, v13
	v_lshlrev_b32_e32 v7, 16, v7
	v_cndmask_b32_e32 v5, v5, v12, vcc
	v_and_or_b32 v7, v4, s18, v7
	v_cmp_lt_u16_sdwa vcc, v4, v9 src0_sel:BYTE_3 src1_sel:BYTE_0
	v_lshrrev_b32_e32 v12, 8, v6
	v_cndmask_b32_e32 v9, v3, v14, vcc
	v_cndmask_b32_e32 v3, v14, v3, vcc
	;; [unrolled: 1-line block ×3, first 2 shown]
	v_perm_b32 v7, v6, v6, s12
	v_cmp_lt_u16_sdwa vcc, v12, v6 src0_sel:BYTE_0 src1_sel:BYTE_0
	v_cndmask_b32_e32 v6, v6, v7, vcc
	v_and_b32_sdwa v7, v6, s19 dst_sel:DWORD dst_unused:UNUSED_PAD src0_sel:WORD_1 src1_sel:DWORD
	v_cndmask_b32_e32 v12, v8, v18, vcc
	v_cndmask_b32_e32 v8, v18, v8, vcc
	v_cmp_lt_u16_sdwa vcc, v6, v7 src0_sel:BYTE_3 src1_sel:DWORD
	v_perm_b32 v13, v6, v6, s13
	v_cndmask_b32_e32 v7, v10, v11, vcc
	v_cndmask_b32_e32 v10, v11, v10, vcc
	v_lshrrev_b32_e32 v11, 8, v5
	v_cndmask_b32_e32 v6, v6, v13, vcc
	v_cmp_lt_u16_sdwa vcc, v11, v5 src0_sel:BYTE_0 src1_sel:BYTE_0
	v_cndmask_b32_e64 v17, v16, v2, s[0:1]
	v_cndmask_b32_e64 v2, v2, v16, s[0:1]
	v_cndmask_b32_e32 v11, v15, v19, vcc
	v_cndmask_b32_e32 v13, v19, v15, vcc
	v_perm_b32 v14, 0, v5, s20
	v_and_b32_sdwa v15, v4, s19 dst_sel:DWORD dst_unused:UNUSED_PAD src0_sel:WORD_1 src1_sel:DWORD
	v_lshrrev_b32_e32 v16, 8, v4
	v_cndmask_b32_e32 v5, v5, v14, vcc
	v_perm_b32 v18, v4, v4, s21
	v_cmp_lt_u16_sdwa vcc, v15, v16 src0_sel:DWORD src1_sel:BYTE_0
	v_cndmask_b32_e32 v4, v4, v18, vcc
	v_and_b32_sdwa v16, v4, s19 dst_sel:DWORD dst_unused:UNUSED_PAD src0_sel:WORD_1 src1_sel:DWORD
	v_lshlrev_b16_e32 v18, 8, v6
	v_perm_b32 v15, v4, v6, s22
	v_or_b32_sdwa v16, v16, v18 dst_sel:WORD_1 dst_unused:UNUSED_PAD src0_sel:DWORD src1_sel:DWORD
	v_cmp_lt_u16_sdwa s[0:1], v6, v4 src0_sel:BYTE_0 src1_sel:BYTE_3
	v_and_or_b32 v16, v4, s18, v16
	v_cndmask_b32_e64 v6, v6, v15, s[0:1]
	v_cndmask_b32_e64 v4, v4, v16, s[0:1]
	v_and_b32_sdwa v15, v6, s19 dst_sel:DWORD dst_unused:UNUSED_PAD src0_sel:WORD_1 src1_sel:DWORD
	v_lshrrev_b32_e32 v16, 8, v6
	v_perm_b32 v18, v6, v6, s21
	v_cmp_lt_u16_sdwa s[2:3], v15, v16 src0_sel:DWORD src1_sel:BYTE_0
	v_cndmask_b32_e64 v6, v6, v18, s[2:3]
	v_lshlrev_b16_e32 v15, 8, v5
	v_and_b32_sdwa v16, v6, s19 dst_sel:DWORD dst_unused:UNUSED_PAD src0_sel:WORD_1 src1_sel:DWORD
	v_and_b32_e32 v14, 0xffffff00, v5
	v_or_b32_sdwa v15, v16, v15 dst_sel:WORD_1 dst_unused:UNUSED_PAD src0_sel:DWORD src1_sel:DWORD
	v_or_b32_sdwa v14, v6, v14 dst_sel:DWORD dst_unused:UNUSED_PAD src0_sel:BYTE_3 src1_sel:DWORD
	v_cndmask_b32_e32 v16, v3, v2, vcc
	v_cndmask_b32_e32 v2, v2, v3, vcc
	v_cndmask_b32_e64 v3, v8, v9, s[0:1]
	v_cndmask_b32_e64 v8, v9, v8, s[0:1]
	;; [unrolled: 1-line block ×4, first 2 shown]
	v_and_or_b32 v12, v6, s18, v15
	v_cmp_lt_u16_sdwa vcc, v5, v6 src0_sel:BYTE_0 src1_sel:BYTE_3
	v_cndmask_b32_e32 v6, v6, v12, vcc
	v_and_b32_e32 v12, 0xffff, v14
	v_cndmask_b32_e32 v15, v13, v7, vcc
	v_cndmask_b32_e32 v7, v7, v13, vcc
	v_perm_b32 v13, 0, v4, s20
	v_cndmask_b32_e32 v5, v5, v12, vcc
	v_lshrrev_b32_e32 v12, 8, v4
	v_and_or_b32 v13, v4, s8, v13
	v_cmp_lt_u16_sdwa vcc, v12, v4 src0_sel:BYTE_0 src1_sel:BYTE_0
	v_cndmask_b32_e32 v4, v4, v13, vcc
	v_lshrrev_b32_e32 v13, 16, v4
	v_perm_b32 v14, 0, v13, s20
	v_cndmask_b32_e32 v12, v17, v2, vcc
	v_cndmask_b32_e32 v2, v2, v17, vcc
	v_lshlrev_b32_e32 v14, 16, v14
	v_cmp_lt_u16_sdwa vcc, v4, v13 src0_sel:BYTE_3 src1_sel:BYTE_0
	v_and_or_b32 v14, v4, s18, v14
	v_cndmask_b32_e32 v13, v8, v16, vcc
	v_cndmask_b32_e32 v8, v16, v8, vcc
	v_lshrrev_b32_e32 v16, 8, v6
	v_cndmask_b32_e32 v4, v4, v14, vcc
	v_perm_b32 v14, v6, v6, s12
	v_cmp_lt_u16_sdwa vcc, v16, v6 src0_sel:BYTE_0 src1_sel:BYTE_0
	v_cndmask_b32_e32 v6, v6, v14, vcc
	v_cndmask_b32_e32 v16, v10, v3, vcc
	;; [unrolled: 1-line block ×3, first 2 shown]
	v_and_b32_sdwa v10, v6, s19 dst_sel:DWORD dst_unused:UNUSED_PAD src0_sel:WORD_1 src1_sel:DWORD
	v_cmp_lt_u16_sdwa vcc, v6, v10 src0_sel:BYTE_3 src1_sel:DWORD
	v_perm_b32 v14, v6, v6, s13
	v_cndmask_b32_e32 v10, v7, v9, vcc
	v_cndmask_b32_e32 v7, v9, v7, vcc
	v_lshrrev_b32_e32 v9, 8, v5
	v_cndmask_b32_e32 v6, v6, v14, vcc
	v_cmp_lt_u16_sdwa vcc, v9, v5 src0_sel:BYTE_0 src1_sel:BYTE_0
	v_perm_b32 v14, 0, v5, s20
	v_cndmask_b32_e32 v9, v11, v15, vcc
	v_cndmask_b32_e32 v11, v15, v11, vcc
	;; [unrolled: 1-line block ×3, first 2 shown]
	v_and_b32_sdwa v14, v4, s19 dst_sel:DWORD dst_unused:UNUSED_PAD src0_sel:WORD_1 src1_sel:DWORD
	v_lshrrev_b32_e32 v15, 8, v4
	v_perm_b32 v17, v4, v4, s21
	v_cmp_lt_u16_sdwa vcc, v14, v15 src0_sel:DWORD src1_sel:BYTE_0
	v_cndmask_b32_e32 v4, v4, v17, vcc
	v_and_b32_sdwa v15, v4, s19 dst_sel:DWORD dst_unused:UNUSED_PAD src0_sel:WORD_1 src1_sel:DWORD
	v_lshlrev_b16_e32 v17, 8, v6
	v_perm_b32 v14, v4, v6, s22
	v_or_b32_sdwa v15, v15, v17 dst_sel:WORD_1 dst_unused:UNUSED_PAD src0_sel:DWORD src1_sel:DWORD
	v_cmp_lt_u16_sdwa s[0:1], v6, v4 src0_sel:BYTE_0 src1_sel:BYTE_3
	v_and_or_b32 v15, v4, s18, v15
	v_cndmask_b32_e64 v6, v6, v14, s[0:1]
	v_cndmask_b32_e64 v4, v4, v15, s[0:1]
	v_and_b32_sdwa v14, v6, s19 dst_sel:DWORD dst_unused:UNUSED_PAD src0_sel:WORD_1 src1_sel:DWORD
	v_lshrrev_b32_e32 v15, 8, v6
	v_perm_b32 v17, v6, v6, s21
	v_cmp_lt_u16_sdwa s[2:3], v14, v15 src0_sel:DWORD src1_sel:BYTE_0
	v_cndmask_b32_e64 v6, v6, v17, s[2:3]
	v_lshlrev_b16_e32 v14, 8, v5
	v_and_b32_sdwa v15, v6, s19 dst_sel:DWORD dst_unused:UNUSED_PAD src0_sel:WORD_1 src1_sel:DWORD
	v_or_b32_sdwa v14, v15, v14 dst_sel:WORD_1 dst_unused:UNUSED_PAD src0_sel:DWORD src1_sel:DWORD
	v_cndmask_b32_e32 v15, v8, v2, vcc
	v_cndmask_b32_e32 v2, v2, v8, vcc
	v_cmp_lt_u16_sdwa vcc, v5, v6 src0_sel:BYTE_0 src1_sel:BYTE_3
	v_cndmask_b32_e64 v8, v3, v13, s[0:1]
	v_cndmask_b32_e64 v3, v13, v3, s[0:1]
	v_cndmask_b32_e64 v13, v7, v16, s[2:3]
	v_cndmask_b32_e64 v7, v16, v7, s[2:3]
	v_cndmask_b32_e32 v16, v11, v10, vcc
	v_cndmask_b32_e32 v10, v10, v11, vcc
	v_perm_b32 v11, 0, v4, s20
	v_lshrrev_b32_e32 v17, 8, v4
	v_and_or_b32 v11, v4, s8, v11
	v_cmp_lt_u16_sdwa s[0:1], v17, v4 src0_sel:BYTE_0 src1_sel:BYTE_0
	v_cndmask_b32_e64 v4, v4, v11, s[0:1]
	v_lshrrev_b32_e32 v11, 16, v4
	v_and_or_b32 v14, v6, s18, v14
	v_cndmask_b32_e64 v17, v12, v2, s[0:1]
	v_cndmask_b32_e64 v2, v2, v12, s[0:1]
	v_perm_b32 v12, 0, v11, s20
	v_cndmask_b32_e32 v14, v6, v14, vcc
	v_lshlrev_b32_e32 v12, 16, v12
	v_cmp_lt_u16_sdwa s[0:1], v4, v11 src0_sel:BYTE_3 src1_sel:BYTE_0
	v_and_or_b32 v12, v4, s18, v12
	v_cndmask_b32_e64 v11, v3, v15, s[0:1]
	v_cndmask_b32_e64 v3, v15, v3, s[0:1]
	v_lshrrev_b32_e32 v15, 8, v14
	v_cndmask_b32_e64 v4, v4, v12, s[0:1]
	v_perm_b32 v12, v14, v14, s12
	v_cmp_lt_u16_sdwa s[0:1], v15, v14 src0_sel:BYTE_0 src1_sel:BYTE_0
	v_cndmask_b32_e64 v15, v7, v8, s[0:1]
	v_cndmask_b32_e64 v7, v8, v7, s[0:1]
	;; [unrolled: 1-line block ×3, first 2 shown]
	v_and_b32_sdwa v12, v8, s19 dst_sel:DWORD dst_unused:UNUSED_PAD src0_sel:WORD_1 src1_sel:DWORD
	v_perm_b32 v14, v8, v8, s13
	v_cmp_lt_u16_sdwa s[0:1], v8, v12 src0_sel:BYTE_3 src1_sel:DWORD
	v_cndmask_b32_e64 v8, v8, v14, s[0:1]
	v_and_b32_sdwa v14, v4, s19 dst_sel:DWORD dst_unused:UNUSED_PAD src0_sel:WORD_1 src1_sel:DWORD
	v_lshrrev_b32_e32 v18, 8, v4
	v_perm_b32 v19, v4, v4, s21
	v_cmp_lt_u16_sdwa s[2:3], v14, v18 src0_sel:DWORD src1_sel:BYTE_0
	v_cndmask_b32_e64 v4, v4, v19, s[2:3]
	v_and_b32_sdwa v18, v4, s19 dst_sel:DWORD dst_unused:UNUSED_PAD src0_sel:WORD_1 src1_sel:DWORD
	v_lshlrev_b16_e32 v19, 8, v8
	v_perm_b32 v14, v4, v8, s22
	v_or_b32_sdwa v18, v18, v19 dst_sel:WORD_1 dst_unused:UNUSED_PAD src0_sel:DWORD src1_sel:DWORD
	v_cmp_lt_u16_sdwa s[4:5], v8, v4 src0_sel:BYTE_0 src1_sel:BYTE_3
	v_and_or_b32 v18, v4, s18, v18
	v_cndmask_b32_e64 v8, v8, v14, s[4:5]
	v_cndmask_b32_e64 v4, v4, v18, s[4:5]
	v_and_b32_sdwa v14, v8, s19 dst_sel:DWORD dst_unused:UNUSED_PAD src0_sel:WORD_1 src1_sel:DWORD
	v_lshrrev_b32_e32 v18, 8, v8
	v_cmp_lt_u16_sdwa s[6:7], v14, v18 src0_sel:DWORD src1_sel:BYTE_0
	v_cndmask_b32_e64 v14, v3, v2, s[2:3]
	v_cndmask_b32_e64 v3, v2, v3, s[2:3]
	v_perm_b32 v2, 0, v4, s20
	v_and_or_b32 v18, v4, s8, v2
	v_lshrrev_b32_e32 v2, 8, v4
	v_cmp_lt_u16_sdwa s[2:3], v2, v4 src0_sel:BYTE_0 src1_sel:BYTE_0
	v_cndmask_b32_e64 v4, v4, v18, s[2:3]
	v_lshrrev_b32_e32 v20, 16, v4
	v_cmp_lt_u16_sdwa s[8:9], v4, v20 src0_sel:BYTE_3 src1_sel:BYTE_0
	v_perm_b32 v20, 0, v20, s20
	v_lshlrev_b32_e32 v20, 16, v20
	v_and_or_b32 v20, v4, s18, v20
	v_cndmask_b32_e64 v4, v4, v20, s[8:9]
	v_and_b32_sdwa v20, v4, s19 dst_sel:DWORD dst_unused:UNUSED_PAD src0_sel:WORD_1 src1_sel:DWORD
	v_lshrrev_b32_e32 v22, 8, v4
	v_cmp_lt_u16_sdwa s[10:11], v20, v22 src0_sel:DWORD src1_sel:BYTE_0
	v_and_b32_e32 v20, 0xffffff00, v5
	v_or_b32_sdwa v6, v6, v20 dst_sel:DWORD dst_unused:UNUSED_PAD src0_sel:BYTE_3 src1_sel:DWORD
	v_and_b32_e32 v6, 0xffff, v6
	v_cndmask_b32_e32 v5, v5, v6, vcc
	v_cndmask_b32_e64 v12, v10, v13, s[0:1]
	v_cndmask_b32_e64 v6, v13, v10, s[0:1]
	v_lshrrev_b32_e32 v10, 8, v5
	v_perm_b32 v19, v8, v8, s21
	v_cmp_lt_u16_sdwa vcc, v10, v5 src0_sel:BYTE_0 src1_sel:BYTE_0
	v_perm_b32 v13, 0, v5, s20
	v_cndmask_b32_e32 v5, v5, v13, vcc
	v_cndmask_b32_e64 v8, v8, v19, s[6:7]
	v_cndmask_b32_e32 v10, v9, v16, vcc
	v_cndmask_b32_e32 v9, v16, v9, vcc
	v_lshlrev_b16_e32 v13, 8, v5
	v_and_b32_sdwa v16, v8, s19 dst_sel:DWORD dst_unused:UNUSED_PAD src0_sel:WORD_1 src1_sel:DWORD
	v_or_b32_sdwa v13, v16, v13 dst_sel:WORD_1 dst_unused:UNUSED_PAD src0_sel:DWORD src1_sel:DWORD
	v_cmp_lt_u16_sdwa vcc, v5, v8 src0_sel:BYTE_0 src1_sel:BYTE_3
	v_cndmask_b32_e64 v18, v11, v7, s[4:5]
	v_cndmask_b32_e64 v7, v7, v11, s[4:5]
	;; [unrolled: 1-line block ×4, first 2 shown]
	v_cndmask_b32_e32 v15, v9, v12, vcc
	v_cndmask_b32_e32 v9, v12, v9, vcc
	v_and_or_b32 v12, v8, s18, v13
	v_cndmask_b32_e32 v12, v8, v12, vcc
	v_lshrrev_b32_e32 v13, 8, v12
	v_cmp_lt_u16_sdwa s[0:1], v13, v12 src0_sel:BYTE_0 src1_sel:BYTE_0
	v_perm_b32 v13, v12, v12, s12
	v_cndmask_b32_e64 v12, v12, v13, s[0:1]
	v_and_b32_sdwa v13, v12, s19 dst_sel:DWORD dst_unused:UNUSED_PAD src0_sel:WORD_1 src1_sel:DWORD
	v_perm_b32 v23, v4, v4, s21
	v_cmp_lt_u16_sdwa s[4:5], v12, v13 src0_sel:BYTE_3 src1_sel:DWORD
	v_perm_b32 v13, v12, v12, s13
	v_cndmask_b32_e64 v12, v12, v13, s[4:5]
	v_cndmask_b32_e64 v13, v4, v23, s[10:11]
	v_perm_b32 v4, v13, v12, s22
	v_cmp_lt_u16_sdwa s[6:7], v12, v13 src0_sel:BYTE_0 src1_sel:BYTE_3
	v_cndmask_b32_e64 v4, v12, v4, s[6:7]
	v_and_b32_sdwa v20, v4, s19 dst_sel:DWORD dst_unused:UNUSED_PAD src0_sel:WORD_1 src1_sel:DWORD
	v_lshrrev_b32_e32 v22, 8, v4
	v_cmp_lt_u16_sdwa s[12:13], v20, v22 src0_sel:DWORD src1_sel:BYTE_0
	v_and_b32_e32 v20, 0xffffff00, v5
	v_or_b32_sdwa v8, v8, v20 dst_sel:DWORD dst_unused:UNUSED_PAD src0_sel:BYTE_3 src1_sel:DWORD
	v_and_b32_e32 v8, 0xffff, v8
	v_cndmask_b32_e32 v5, v5, v8, vcc
	v_cndmask_b32_e64 v16, v6, v7, s[0:1]
	v_cndmask_b32_e64 v19, v9, v11, s[4:5]
	;; [unrolled: 1-line block ×4, first 2 shown]
	v_lshrrev_b32_e32 v9, 8, v5
	v_cmp_lt_u16_sdwa vcc, v9, v5 src0_sel:BYTE_0 src1_sel:BYTE_0
	v_perm_b32 v23, v4, v4, s21
	v_cndmask_b32_e32 v11, v10, v15, vcc
	v_cndmask_b32_e32 v9, v15, v10, vcc
	v_perm_b32 v10, 0, v5, s20
	v_cndmask_b32_e64 v2, v17, v3, s[2:3]
	v_cndmask_b32_e64 v21, v18, v14, s[8:9]
	;; [unrolled: 1-line block ×4, first 2 shown]
	v_cndmask_b32_e32 v14, v5, v10, vcc
	v_cndmask_b32_e64 v15, v4, v23, s[12:13]
	v_cndmask_b32_e64 v4, v8, v3, s[10:11]
	;; [unrolled: 1-line block ×5, first 2 shown]
	v_lshlrev_b16_e32 v10, 8, v14
	v_and_b32_sdwa v16, v15, s19 dst_sel:DWORD dst_unused:UNUSED_PAD src0_sel:WORD_1 src1_sel:DWORD
	v_or_b32_sdwa v10, v16, v10 dst_sel:WORD_1 dst_unused:UNUSED_PAD src0_sel:DWORD src1_sel:DWORD
	v_and_b32_sdwa v16, v13, s19 dst_sel:DWORD dst_unused:UNUSED_PAD src0_sel:WORD_1 src1_sel:DWORD
	v_lshlrev_b16_e32 v12, 8, v12
	v_or_b32_sdwa v12, v16, v12 dst_sel:WORD_1 dst_unused:UNUSED_PAD src0_sel:DWORD src1_sel:DWORD
	v_and_b32_e32 v16, 0xffffff00, v14
	v_and_or_b32 v12, v13, s18, v12
	v_or_b32_sdwa v16, v15, v16 dst_sel:DWORD dst_unused:UNUSED_PAD src0_sel:BYTE_3 src1_sel:DWORD
	v_cndmask_b32_e64 v12, v13, v12, s[6:7]
	v_and_or_b32 v13, v15, s18, v10
	v_cmp_lt_u16_sdwa vcc, v14, v15 src0_sel:BYTE_0 src1_sel:BYTE_3
	v_and_b32_e32 v16, 0xffff, v16
	v_cndmask_b32_e32 v13, v15, v13, vcc
	v_lshrrev_b32_e32 v15, 16, v12
	s_mov_b32 s0, 0x7000504
	v_cndmask_b32_e32 v14, v14, v16, vcc
	v_perm_b32 v12, v12, v15, s0
	s_mov_b32 s0, 0xc0c0104
	v_perm_b32 v14, v14, v14, s0
	v_cndmask_b32_e64 v5, v21, v6, s[6:7]
	v_cndmask_b32_e64 v6, v6, v21, s[6:7]
	v_cndmask_b32_e32 v10, v9, v19, vcc
	v_cndmask_b32_e32 v9, v19, v9, vcc
	global_store_short v0, v14, s[14:15] offset:8
	global_store_dwordx2 v0, v[12:13], s[14:15]
	global_store_dwordx4 v1, v[2:5], s[16:17]
	global_store_dwordx4 v1, v[6:9], s[16:17] offset:16
	global_store_dwordx2 v1, v[10:11], s[16:17] offset:32
	s_endpgm
	.section	.rodata,"a",@progbits
	.p2align	6, 0x0
	.amdhsa_kernel _Z16sort_keys_valuesILj256ELj10EhiN10test_utils4lessEEvPT1_PT2_T3_
		.amdhsa_group_segment_fixed_size 0
		.amdhsa_private_segment_fixed_size 0
		.amdhsa_kernarg_size 20
		.amdhsa_user_sgpr_count 6
		.amdhsa_user_sgpr_private_segment_buffer 1
		.amdhsa_user_sgpr_dispatch_ptr 0
		.amdhsa_user_sgpr_queue_ptr 0
		.amdhsa_user_sgpr_kernarg_segment_ptr 1
		.amdhsa_user_sgpr_dispatch_id 0
		.amdhsa_user_sgpr_flat_scratch_init 0
		.amdhsa_user_sgpr_private_segment_size 0
		.amdhsa_uses_dynamic_stack 0
		.amdhsa_system_sgpr_private_segment_wavefront_offset 0
		.amdhsa_system_sgpr_workgroup_id_x 1
		.amdhsa_system_sgpr_workgroup_id_y 0
		.amdhsa_system_sgpr_workgroup_id_z 0
		.amdhsa_system_sgpr_workgroup_info 0
		.amdhsa_system_vgpr_workitem_id 0
		.amdhsa_next_free_vgpr 24
		.amdhsa_next_free_sgpr 23
		.amdhsa_reserve_vcc 1
		.amdhsa_reserve_flat_scratch 0
		.amdhsa_float_round_mode_32 0
		.amdhsa_float_round_mode_16_64 0
		.amdhsa_float_denorm_mode_32 3
		.amdhsa_float_denorm_mode_16_64 3
		.amdhsa_dx10_clamp 1
		.amdhsa_ieee_mode 1
		.amdhsa_fp16_overflow 0
		.amdhsa_exception_fp_ieee_invalid_op 0
		.amdhsa_exception_fp_denorm_src 0
		.amdhsa_exception_fp_ieee_div_zero 0
		.amdhsa_exception_fp_ieee_overflow 0
		.amdhsa_exception_fp_ieee_underflow 0
		.amdhsa_exception_fp_ieee_inexact 0
		.amdhsa_exception_int_div_zero 0
	.end_amdhsa_kernel
	.section	.text._Z16sort_keys_valuesILj256ELj10EhiN10test_utils4lessEEvPT1_PT2_T3_,"axG",@progbits,_Z16sort_keys_valuesILj256ELj10EhiN10test_utils4lessEEvPT1_PT2_T3_,comdat
.Lfunc_end19:
	.size	_Z16sort_keys_valuesILj256ELj10EhiN10test_utils4lessEEvPT1_PT2_T3_, .Lfunc_end19-_Z16sort_keys_valuesILj256ELj10EhiN10test_utils4lessEEvPT1_PT2_T3_
                                        ; -- End function
	.set _Z16sort_keys_valuesILj256ELj10EhiN10test_utils4lessEEvPT1_PT2_T3_.num_vgpr, 24
	.set _Z16sort_keys_valuesILj256ELj10EhiN10test_utils4lessEEvPT1_PT2_T3_.num_agpr, 0
	.set _Z16sort_keys_valuesILj256ELj10EhiN10test_utils4lessEEvPT1_PT2_T3_.numbered_sgpr, 23
	.set _Z16sort_keys_valuesILj256ELj10EhiN10test_utils4lessEEvPT1_PT2_T3_.num_named_barrier, 0
	.set _Z16sort_keys_valuesILj256ELj10EhiN10test_utils4lessEEvPT1_PT2_T3_.private_seg_size, 0
	.set _Z16sort_keys_valuesILj256ELj10EhiN10test_utils4lessEEvPT1_PT2_T3_.uses_vcc, 1
	.set _Z16sort_keys_valuesILj256ELj10EhiN10test_utils4lessEEvPT1_PT2_T3_.uses_flat_scratch, 0
	.set _Z16sort_keys_valuesILj256ELj10EhiN10test_utils4lessEEvPT1_PT2_T3_.has_dyn_sized_stack, 0
	.set _Z16sort_keys_valuesILj256ELj10EhiN10test_utils4lessEEvPT1_PT2_T3_.has_recursion, 0
	.set _Z16sort_keys_valuesILj256ELj10EhiN10test_utils4lessEEvPT1_PT2_T3_.has_indirect_call, 0
	.section	.AMDGPU.csdata,"",@progbits
; Kernel info:
; codeLenInByte = 2536
; TotalNumSgprs: 27
; NumVgprs: 24
; ScratchSize: 0
; MemoryBound: 0
; FloatMode: 240
; IeeeMode: 1
; LDSByteSize: 0 bytes/workgroup (compile time only)
; SGPRBlocks: 3
; VGPRBlocks: 5
; NumSGPRsForWavesPerEU: 27
; NumVGPRsForWavesPerEU: 24
; Occupancy: 10
; WaveLimiterHint : 0
; COMPUTE_PGM_RSRC2:SCRATCH_EN: 0
; COMPUTE_PGM_RSRC2:USER_SGPR: 6
; COMPUTE_PGM_RSRC2:TRAP_HANDLER: 0
; COMPUTE_PGM_RSRC2:TGID_X_EN: 1
; COMPUTE_PGM_RSRC2:TGID_Y_EN: 0
; COMPUTE_PGM_RSRC2:TGID_Z_EN: 0
; COMPUTE_PGM_RSRC2:TIDIG_COMP_CNT: 0
	.section	.text._Z16sort_keys_valuesILj256ELj9EycN10test_utils4lessEEvPT1_PT2_T3_,"axG",@progbits,_Z16sort_keys_valuesILj256ELj9EycN10test_utils4lessEEvPT1_PT2_T3_,comdat
	.protected	_Z16sort_keys_valuesILj256ELj9EycN10test_utils4lessEEvPT1_PT2_T3_ ; -- Begin function _Z16sort_keys_valuesILj256ELj9EycN10test_utils4lessEEvPT1_PT2_T3_
	.globl	_Z16sort_keys_valuesILj256ELj9EycN10test_utils4lessEEvPT1_PT2_T3_
	.p2align	8
	.type	_Z16sort_keys_valuesILj256ELj9EycN10test_utils4lessEEvPT1_PT2_T3_,@function
_Z16sort_keys_valuesILj256ELj9EycN10test_utils4lessEEvPT1_PT2_T3_: ; @_Z16sort_keys_valuesILj256ELj9EycN10test_utils4lessEEvPT1_PT2_T3_
; %bb.0:
	s_load_dwordx4 s[0:3], s[4:5], 0x0
	s_mul_i32 s4, s6, 0x900
	s_mov_b32 s5, 0
	s_lshl_b64 s[6:7], s[4:5], 3
	v_mul_u32_u24_e32 v0, 9, v0
	s_waitcnt lgkmcnt(0)
	s_add_u32 s6, s0, s6
	s_addc_u32 s7, s1, s7
	s_add_u32 s4, s2, s4
	s_addc_u32 s5, s3, 0
	v_lshlrev_b32_e32 v1, 3, v0
	global_load_dwordx2 v[14:15], v0, s[4:5]
	global_load_dwordx4 v[2:5], v1, s[6:7] offset:32
	global_load_dwordx4 v[6:9], v1, s[6:7]
	global_load_dwordx4 v[10:13], v1, s[6:7] offset:48
	s_mov_b32 s8, 0x7060405
	s_mov_b32 s9, 0x6070504
	;; [unrolled: 1-line block ×5, first 2 shown]
	s_movk_i32 s12, 0xff
	s_mov_b32 s15, 0x3020107
	s_mov_b32 s13, 0xffff0000
	global_load_ubyte v23, v0, s[4:5] offset:8
	s_mov_b32 s2, 0x60504
	s_waitcnt vmcnt(4)
	v_perm_b32 v16, v15, v15, s8
	s_waitcnt vmcnt(3)
	v_cmp_lt_u64_e32 vcc, v[4:5], v[2:3]
	v_lshrrev_b32_e32 v19, 8, v14
	v_cndmask_b32_e32 v21, v15, v16, vcc
	v_cndmask_b32_e32 v16, v5, v3, vcc
	;; [unrolled: 1-line block ×5, first 2 shown]
	global_load_dwordx4 v[2:5], v1, s[6:7] offset:16
	v_lshlrev_b16_e32 v20, 8, v14
	v_or_b32_sdwa v20, v19, v20 dst_sel:DWORD dst_unused:UNUSED_PAD src0_sel:BYTE_0 src1_sel:DWORD
	v_lshlrev_b16_e32 v19, 8, v19
	s_waitcnt vmcnt(3)
	v_cmp_lt_u64_e32 vcc, v[8:9], v[6:7]
	v_or_b32_sdwa v19, v14, v19 dst_sel:DWORD dst_unused:UNUSED_PAD src0_sel:BYTE_0 src1_sel:DWORD
	v_cndmask_b32_e32 v22, v19, v20, vcc
	v_cndmask_b32_e32 v20, v7, v9, vcc
	;; [unrolled: 1-line block ×5, first 2 shown]
	s_waitcnt vmcnt(2)
	v_cmp_lt_u64_e32 vcc, v[12:13], v[10:11]
	v_perm_b32 v8, v21, v21, s9
	v_cndmask_b32_e32 v21, v21, v8, vcc
	v_cndmask_b32_e32 v8, v12, v10, vcc
	;; [unrolled: 1-line block ×3, first 2 shown]
	v_lshrrev_b32_e32 v12, 16, v14
	v_perm_b32 v12, 0, v12, s11
	v_cndmask_b32_e32 v9, v13, v11, vcc
	v_cndmask_b32_e32 v11, v11, v13, vcc
	v_lshlrev_b32_e32 v12, 16, v12
	v_bfi_b32 v13, s10, v22, v14
	v_and_or_b32 v12, v22, s10, v12
	s_waitcnt vmcnt(0)
	v_cmp_lt_u64_e32 vcc, v[4:5], v[2:3]
	v_cndmask_b32_e32 v14, v13, v12, vcc
	v_cndmask_b32_e32 v13, v5, v3, vcc
	;; [unrolled: 1-line block ×5, first 2 shown]
	v_cmp_lt_u64_e32 vcc, v[2:3], v[6:7]
	v_perm_b32 v4, v14, v14, s14
	v_cndmask_b32_e32 v14, v14, v4, vcc
	v_cndmask_b32_e32 v5, v3, v7, vcc
	;; [unrolled: 1-line block ×5, first 2 shown]
	v_lshlrev_b16_e32 v6, 8, v21
	v_and_b32_sdwa v7, v14, s12 dst_sel:DWORD dst_unused:UNUSED_PAD src0_sel:WORD_1 src1_sel:DWORD
	v_or_b32_sdwa v6, v7, v6 dst_sel:WORD_1 dst_unused:UNUSED_PAD src0_sel:DWORD src1_sel:DWORD
	v_cmp_lt_u64_e32 vcc, v[17:18], v[12:13]
	v_and_or_b32 v6, v14, s10, v6
	v_cndmask_b32_e32 v22, v14, v6, vcc
	v_perm_b32 v14, v14, v21, s15
	v_cndmask_b32_e32 v7, v18, v13, vcc
	v_cndmask_b32_e32 v6, v17, v12, vcc
	;; [unrolled: 1-line block ×5, first 2 shown]
	v_cmp_lt_u64_e32 vcc, v[10:11], v[15:16]
	v_perm_b32 v17, v14, v14, s14
	v_cndmask_b32_e32 v24, v14, v17, vcc
	v_perm_b32 v14, 0, v22, s11
	v_cmp_lt_u64_e64 s[0:1], v[2:3], v[19:20]
	v_and_or_b32 v14, v22, s13, v14
	v_cndmask_b32_e64 v14, v22, v14, s[0:1]
	v_cndmask_b32_e32 v17, v10, v15, vcc
	v_cndmask_b32_e32 v10, v15, v10, vcc
	v_lshrrev_b32_e32 v15, 16, v14
	v_perm_b32 v15, 0, v15, s11
	v_cndmask_b32_e32 v18, v11, v16, vcc
	v_cndmask_b32_e32 v11, v16, v11, vcc
	v_lshlrev_b32_e32 v15, 16, v15
	v_cmp_lt_u64_e32 vcc, v[12:13], v[4:5]
	v_and_or_b32 v15, v14, s10, v15
	v_cndmask_b32_e32 v16, v14, v15, vcc
	v_cndmask_b32_e32 v15, v13, v5, vcc
	;; [unrolled: 1-line block ×5, first 2 shown]
	global_load_dwordx2 v[12:13], v1, s[6:7] offset:64
	v_perm_b32 v21, v24, v23, s2
	v_cmp_lt_u64_e64 s[2:3], v[10:11], v[6:7]
	s_waitcnt vmcnt(0)
	v_cmp_lt_u64_e32 vcc, v[12:13], v[8:9]
	v_cndmask_b32_e32 v21, v24, v21, vcc
	v_perm_b32 v22, v21, v21, s8
	v_cndmask_b32_e64 v25, v21, v22, s[2:3]
	v_cndmask_b32_e64 v22, v11, v7, s[2:3]
	;; [unrolled: 1-line block ×5, first 2 shown]
	v_cndmask_b32_e32 v11, v9, v13, vcc
	v_cndmask_b32_e32 v10, v8, v12, vcc
	v_cndmask_b32_e32 v9, v13, v9, vcc
	v_cndmask_b32_e32 v8, v12, v8, vcc
	v_cndmask_b32_e64 v13, v3, v20, s[0:1]
	v_cndmask_b32_e64 v12, v2, v19, s[0:1]
	v_cndmask_b32_e64 v3, v20, v3, s[0:1]
	v_cndmask_b32_e64 v2, v19, v2, s[0:1]
	v_cmp_lt_u64_e64 s[0:1], v[10:11], v[17:18]
	v_perm_b32 v19, v25, v25, s9
	v_cndmask_b32_e64 v25, v25, v19, s[0:1]
	v_cndmask_b32_e64 v20, v18, v11, s[0:1]
	v_cndmask_b32_e64 v19, v17, v10, s[0:1]
	v_cndmask_b32_e64 v11, v11, v18, s[0:1]
	v_cndmask_b32_e64 v10, v10, v17, s[0:1]
	v_cmp_lt_u64_e64 s[0:1], v[4:5], v[12:13]
	v_perm_b32 v17, v16, v16, s14
	v_cndmask_b32_e64 v18, v16, v17, s[0:1]
	;; [unrolled: 7-line block ×3, first 2 shown]
	v_cmp_lt_u64_e64 s[2:3], v[19:20], v[21:22]
	v_cndmask_b32_e64 v12, v6, v14, s[0:1]
	v_cndmask_b32_e64 v6, v14, v6, s[0:1]
	v_perm_b32 v14, v26, v26, s14
	v_cndmask_b32_e64 v13, v7, v15, s[0:1]
	v_cndmask_b32_e64 v7, v15, v7, s[0:1]
	;; [unrolled: 1-line block ×7, first 2 shown]
	v_lshlrev_b16_e32 v21, 8, v25
	v_and_b32_sdwa v22, v18, s12 dst_sel:DWORD dst_unused:UNUSED_PAD src0_sel:WORD_1 src1_sel:DWORD
	v_or_b32_sdwa v21, v22, v21 dst_sel:WORD_1 dst_unused:UNUSED_PAD src0_sel:DWORD src1_sel:DWORD
	v_and_or_b32 v21, v18, s10, v21
	v_cndmask_b32_e64 v18, v18, v21, s[0:1]
	v_perm_b32 v21, 0, v18, s11
	v_cmp_lt_u64_e64 s[0:1], v[4:5], v[2:3]
	v_and_or_b32 v21, v18, s13, v21
	v_cndmask_b32_e64 v18, v18, v21, s[0:1]
	v_lshrrev_b32_e32 v21, 16, v18
	v_perm_b32 v21, 0, v21, s11
	v_lshlrev_b32_e32 v21, 16, v21
	v_cmp_lt_u64_e64 s[2:3], v[6:7], v[16:17]
	v_and_or_b32 v21, v18, s10, v21
	v_cndmask_b32_e64 v25, v18, v21, s[2:3]
	v_cndmask_b32_e64 v21, v6, v16, s[2:3]
	v_cndmask_b32_e64 v6, v16, v6, s[2:3]
	v_mov_b32_e32 v16, 0x3020104
	v_cndmask_b32_e64 v22, v7, v17, s[2:3]
	v_cndmask_b32_e64 v7, v17, v7, s[2:3]
	v_perm_b32 v16, v23, s0, v16
	v_lshrrev_b32_e32 v17, 24, v24
	v_cndmask_b32_e32 v23, v16, v17, vcc
	v_lshlrev_b16_e32 v16, 8, v23
	v_and_b32_sdwa v17, v26, s12 dst_sel:DWORD dst_unused:UNUSED_PAD src0_sel:WORD_1 src1_sel:DWORD
	v_or_b32_sdwa v16, v17, v16 dst_sel:WORD_1 dst_unused:UNUSED_PAD src0_sel:DWORD src1_sel:DWORD
	v_cmp_lt_u64_e32 vcc, v[8:9], v[10:11]
	v_and_or_b32 v16, v26, s10, v16
	v_cndmask_b32_e32 v16, v26, v16, vcc
	v_cmp_lt_u64_e64 s[2:3], v[19:20], v[12:13]
	v_perm_b32 v17, v16, v16, s8
	v_cndmask_b32_e64 v24, v16, v17, s[2:3]
	v_cndmask_b32_e64 v16, v19, v12, s[2:3]
	v_cndmask_b32_e64 v12, v12, v19, s[2:3]
	v_cndmask_b32_e32 v19, v11, v9, vcc
	v_cndmask_b32_e32 v18, v10, v8, vcc
	;; [unrolled: 1-line block ×4, first 2 shown]
	v_cndmask_b32_e64 v11, v5, v3, s[0:1]
	v_cndmask_b32_e64 v10, v4, v2, s[0:1]
	;; [unrolled: 1-line block ×4, first 2 shown]
	v_cmp_lt_u64_e64 s[0:1], v[18:19], v[14:15]
	v_perm_b32 v4, v24, v24, s9
	v_cndmask_b32_e64 v24, v24, v4, s[0:1]
	v_cndmask_b32_e64 v5, v15, v19, s[0:1]
	v_cndmask_b32_e64 v4, v14, v18, s[0:1]
	v_cndmask_b32_e64 v15, v19, v15, s[0:1]
	v_cndmask_b32_e64 v14, v18, v14, s[0:1]
	v_cmp_lt_u64_e64 s[0:1], v[6:7], v[10:11]
	v_cndmask_b32_e64 v17, v20, v13, s[2:3]
	v_cndmask_b32_e64 v13, v13, v20, s[2:3]
	v_perm_b32 v18, v25, v25, s14
	v_cndmask_b32_e64 v25, v25, v18, s[0:1]
	v_cndmask_b32_e64 v19, v7, v11, s[0:1]
	;; [unrolled: 1-line block ×5, first 2 shown]
	v_cmp_lt_u64_e64 s[0:1], v[12:13], v[21:22]
	v_perm_b32 v10, v25, v24, s15
	v_cndmask_b32_e64 v20, v24, v10, s[0:1]
	v_cmp_lt_u64_e64 s[2:3], v[4:5], v[16:17]
	v_cndmask_b32_e64 v10, v12, v21, s[0:1]
	v_cndmask_b32_e64 v12, v21, v12, s[0:1]
	v_perm_b32 v21, v20, v20, s14
	v_cndmask_b32_e64 v27, v20, v21, s[2:3]
	v_cndmask_b32_e64 v21, v5, v17, s[2:3]
	;; [unrolled: 1-line block ×5, first 2 shown]
	v_lshlrev_b16_e32 v16, 8, v24
	v_and_b32_sdwa v17, v25, s12 dst_sel:DWORD dst_unused:UNUSED_PAD src0_sel:WORD_1 src1_sel:DWORD
	v_or_b32_sdwa v16, v17, v16 dst_sel:WORD_1 dst_unused:UNUSED_PAD src0_sel:DWORD src1_sel:DWORD
	v_and_or_b32 v16, v25, s10, v16
	v_cndmask_b32_e64 v16, v25, v16, s[0:1]
	v_cndmask_b32_e64 v11, v13, v22, s[0:1]
	;; [unrolled: 1-line block ×3, first 2 shown]
	v_perm_b32 v17, 0, v16, s11
	v_cmp_lt_u64_e64 s[0:1], v[6:7], v[2:3]
	v_and_or_b32 v17, v16, s13, v17
	v_cndmask_b32_e64 v16, v16, v17, s[0:1]
	v_lshrrev_b32_e32 v17, 16, v16
	v_perm_b32 v17, 0, v17, s11
	v_lshlrev_b32_e32 v17, 16, v17
	v_cmp_lt_u64_e64 s[2:3], v[12:13], v[18:19]
	v_and_or_b32 v17, v16, s10, v17
	v_cndmask_b32_e64 v22, v16, v17, s[2:3]
	v_cndmask_b32_e64 v16, v12, v18, s[2:3]
	;; [unrolled: 1-line block ×3, first 2 shown]
	v_lshrrev_b32_e32 v18, 24, v26
	v_cndmask_b32_e32 v24, v23, v18, vcc
	v_cndmask_b32_e64 v17, v13, v19, s[2:3]
	v_cndmask_b32_e64 v13, v19, v13, s[2:3]
	v_lshlrev_b16_e32 v18, 8, v24
	v_and_b32_sdwa v19, v27, s12 dst_sel:DWORD dst_unused:UNUSED_PAD src0_sel:WORD_1 src1_sel:DWORD
	v_or_b32_sdwa v18, v19, v18 dst_sel:WORD_1 dst_unused:UNUSED_PAD src0_sel:DWORD src1_sel:DWORD
	v_cmp_lt_u64_e32 vcc, v[8:9], v[14:15]
	v_and_or_b32 v18, v27, s10, v18
	v_cndmask_b32_e32 v18, v27, v18, vcc
	v_cmp_lt_u64_e64 s[2:3], v[4:5], v[10:11]
	v_perm_b32 v19, v18, v18, s8
	v_cndmask_b32_e64 v23, v18, v19, s[2:3]
	v_cndmask_b32_e64 v19, v5, v11, s[2:3]
	;; [unrolled: 1-line block ×5, first 2 shown]
	v_cndmask_b32_e32 v11, v15, v9, vcc
	v_cndmask_b32_e32 v10, v14, v8, vcc
	;; [unrolled: 1-line block ×4, first 2 shown]
	v_cndmask_b32_e64 v15, v7, v3, s[0:1]
	v_cndmask_b32_e64 v14, v6, v2, s[0:1]
	v_cndmask_b32_e64 v3, v3, v7, s[0:1]
	v_cndmask_b32_e64 v2, v2, v6, s[0:1]
	v_cmp_lt_u64_e64 s[0:1], v[10:11], v[20:21]
	v_perm_b32 v6, v23, v23, s9
	v_cndmask_b32_e64 v28, v23, v6, s[0:1]
	v_cndmask_b32_e64 v7, v21, v11, s[0:1]
	v_cndmask_b32_e64 v6, v20, v10, s[0:1]
	v_cndmask_b32_e64 v11, v11, v21, s[0:1]
	v_cndmask_b32_e64 v10, v10, v20, s[0:1]
	v_cmp_lt_u64_e64 s[0:1], v[12:13], v[14:15]
	v_perm_b32 v20, v22, v22, s14
	v_cndmask_b32_e64 v29, v22, v20, s[0:1]
	;; [unrolled: 7-line block ×3, first 2 shown]
	v_cmp_lt_u64_e64 s[2:3], v[6:7], v[18:19]
	v_cndmask_b32_e64 v14, v4, v16, s[0:1]
	v_cndmask_b32_e64 v16, v16, v4, s[0:1]
	v_perm_b32 v4, v22, v22, s14
	v_cndmask_b32_e64 v30, v22, v4, s[2:3]
	v_lshrrev_b32_e32 v4, 24, v27
	v_cndmask_b32_e32 v31, v24, v4, vcc
	v_cndmask_b32_e64 v15, v5, v17, s[0:1]
	v_cndmask_b32_e64 v17, v17, v5, s[0:1]
	v_lshlrev_b16_e32 v4, 8, v31
	v_and_b32_sdwa v5, v30, s12 dst_sel:DWORD dst_unused:UNUSED_PAD src0_sel:WORD_1 src1_sel:DWORD
	v_or_b32_sdwa v4, v5, v4 dst_sel:WORD_1 dst_unused:UNUSED_PAD src0_sel:DWORD src1_sel:DWORD
	v_cmp_lt_u64_e32 vcc, v[8:9], v[10:11]
	v_and_or_b32 v4, v30, s10, v4
	v_cndmask_b32_e32 v32, v30, v4, vcc
	v_lshlrev_b16_e32 v4, 8, v28
	v_and_b32_sdwa v5, v29, s12 dst_sel:DWORD dst_unused:UNUSED_PAD src0_sel:WORD_1 src1_sel:DWORD
	v_or_b32_sdwa v4, v5, v4 dst_sel:WORD_1 dst_unused:UNUSED_PAD src0_sel:DWORD src1_sel:DWORD
	v_and_or_b32 v4, v29, s10, v4
	v_cndmask_b32_e64 v4, v29, v4, s[0:1]
	v_perm_b32 v5, 0, v4, s11
	v_cmp_lt_u64_e64 s[0:1], v[12:13], v[2:3]
	v_and_or_b32 v5, v4, s13, v5
	v_cndmask_b32_e64 v22, v6, v18, s[2:3]
	v_cndmask_b32_e64 v18, v18, v6, s[2:3]
	;; [unrolled: 1-line block ×5, first 2 shown]
	v_lshrrev_b32_e32 v7, 16, v6
	v_perm_b32 v7, 0, v7, s11
	v_cndmask_b32_e64 v5, v13, v3, s[0:1]
	v_cndmask_b32_e64 v4, v12, v2, s[0:1]
	;; [unrolled: 1-line block ×4, first 2 shown]
	v_lshlrev_b32_e32 v7, 16, v7
	v_cmp_lt_u64_e64 s[0:1], v[16:17], v[20:21]
	v_and_or_b32 v7, v6, s10, v7
	v_cndmask_b32_e32 v25, v9, v11, vcc
	v_cndmask_b32_e32 v24, v8, v10, vcc
	;; [unrolled: 1-line block ×4, first 2 shown]
	v_cndmask_b32_e64 v28, v6, v7, s[0:1]
	v_cndmask_b32_e64 v9, v17, v21, s[0:1]
	v_cndmask_b32_e64 v8, v16, v20, s[0:1]
	v_cndmask_b32_e64 v7, v21, v17, s[0:1]
	v_cndmask_b32_e64 v6, v20, v16, s[0:1]
	v_cmp_lt_u64_e64 s[0:1], v[18:19], v[14:15]
	v_perm_b32 v10, v32, v32, s8
	v_cndmask_b32_e64 v16, v32, v10, s[0:1]
	v_cndmask_b32_e64 v13, v19, v15, s[0:1]
	;; [unrolled: 1-line block ×5, first 2 shown]
	v_cmp_lt_u64_e64 s[0:1], v[26:27], v[22:23]
	v_perm_b32 v14, v16, v16, s9
	global_store_dwordx4 v1, v[2:5], s[6:7]
	v_cndmask_b32_e64 v18, v16, v14, s[0:1]
	v_lshrrev_b32_e32 v2, 24, v30
	v_cndmask_b32_e64 v17, v27, v23, s[0:1]
	v_cndmask_b32_e64 v16, v26, v22, s[0:1]
	;; [unrolled: 1-line block ×4, first 2 shown]
	v_cndmask_b32_e32 v2, v31, v2, vcc
	global_store_dwordx4 v1, v[6:9], s[6:7] offset:16
	global_store_dwordx4 v1, v[10:13], s[6:7] offset:32
	;; [unrolled: 1-line block ×3, first 2 shown]
	global_store_dwordx2 v1, v[24:25], s[6:7] offset:64
	v_lshrrev_b32_e32 v1, 16, v28
	s_mov_b32 s0, 0x7000504
	v_perm_b32 v17, v28, v1, s0
	global_store_byte v0, v2, s[4:5] offset:8
	global_store_dwordx2 v0, v[17:18], s[4:5]
	s_endpgm
	.section	.rodata,"a",@progbits
	.p2align	6, 0x0
	.amdhsa_kernel _Z16sort_keys_valuesILj256ELj9EycN10test_utils4lessEEvPT1_PT2_T3_
		.amdhsa_group_segment_fixed_size 0
		.amdhsa_private_segment_fixed_size 0
		.amdhsa_kernarg_size 20
		.amdhsa_user_sgpr_count 6
		.amdhsa_user_sgpr_private_segment_buffer 1
		.amdhsa_user_sgpr_dispatch_ptr 0
		.amdhsa_user_sgpr_queue_ptr 0
		.amdhsa_user_sgpr_kernarg_segment_ptr 1
		.amdhsa_user_sgpr_dispatch_id 0
		.amdhsa_user_sgpr_flat_scratch_init 0
		.amdhsa_user_sgpr_private_segment_size 0
		.amdhsa_uses_dynamic_stack 0
		.amdhsa_system_sgpr_private_segment_wavefront_offset 0
		.amdhsa_system_sgpr_workgroup_id_x 1
		.amdhsa_system_sgpr_workgroup_id_y 0
		.amdhsa_system_sgpr_workgroup_id_z 0
		.amdhsa_system_sgpr_workgroup_info 0
		.amdhsa_system_vgpr_workitem_id 0
		.amdhsa_next_free_vgpr 33
		.amdhsa_next_free_sgpr 16
		.amdhsa_reserve_vcc 1
		.amdhsa_reserve_flat_scratch 0
		.amdhsa_float_round_mode_32 0
		.amdhsa_float_round_mode_16_64 0
		.amdhsa_float_denorm_mode_32 3
		.amdhsa_float_denorm_mode_16_64 3
		.amdhsa_dx10_clamp 1
		.amdhsa_ieee_mode 1
		.amdhsa_fp16_overflow 0
		.amdhsa_exception_fp_ieee_invalid_op 0
		.amdhsa_exception_fp_denorm_src 0
		.amdhsa_exception_fp_ieee_div_zero 0
		.amdhsa_exception_fp_ieee_overflow 0
		.amdhsa_exception_fp_ieee_underflow 0
		.amdhsa_exception_fp_ieee_inexact 0
		.amdhsa_exception_int_div_zero 0
	.end_amdhsa_kernel
	.section	.text._Z16sort_keys_valuesILj256ELj9EycN10test_utils4lessEEvPT1_PT2_T3_,"axG",@progbits,_Z16sort_keys_valuesILj256ELj9EycN10test_utils4lessEEvPT1_PT2_T3_,comdat
.Lfunc_end20:
	.size	_Z16sort_keys_valuesILj256ELj9EycN10test_utils4lessEEvPT1_PT2_T3_, .Lfunc_end20-_Z16sort_keys_valuesILj256ELj9EycN10test_utils4lessEEvPT1_PT2_T3_
                                        ; -- End function
	.set _Z16sort_keys_valuesILj256ELj9EycN10test_utils4lessEEvPT1_PT2_T3_.num_vgpr, 33
	.set _Z16sort_keys_valuesILj256ELj9EycN10test_utils4lessEEvPT1_PT2_T3_.num_agpr, 0
	.set _Z16sort_keys_valuesILj256ELj9EycN10test_utils4lessEEvPT1_PT2_T3_.numbered_sgpr, 16
	.set _Z16sort_keys_valuesILj256ELj9EycN10test_utils4lessEEvPT1_PT2_T3_.num_named_barrier, 0
	.set _Z16sort_keys_valuesILj256ELj9EycN10test_utils4lessEEvPT1_PT2_T3_.private_seg_size, 0
	.set _Z16sort_keys_valuesILj256ELj9EycN10test_utils4lessEEvPT1_PT2_T3_.uses_vcc, 1
	.set _Z16sort_keys_valuesILj256ELj9EycN10test_utils4lessEEvPT1_PT2_T3_.uses_flat_scratch, 0
	.set _Z16sort_keys_valuesILj256ELj9EycN10test_utils4lessEEvPT1_PT2_T3_.has_dyn_sized_stack, 0
	.set _Z16sort_keys_valuesILj256ELj9EycN10test_utils4lessEEvPT1_PT2_T3_.has_recursion, 0
	.set _Z16sort_keys_valuesILj256ELj9EycN10test_utils4lessEEvPT1_PT2_T3_.has_indirect_call, 0
	.section	.AMDGPU.csdata,"",@progbits
; Kernel info:
; codeLenInByte = 2396
; TotalNumSgprs: 20
; NumVgprs: 33
; ScratchSize: 0
; MemoryBound: 0
; FloatMode: 240
; IeeeMode: 1
; LDSByteSize: 0 bytes/workgroup (compile time only)
; SGPRBlocks: 2
; VGPRBlocks: 8
; NumSGPRsForWavesPerEU: 20
; NumVGPRsForWavesPerEU: 33
; Occupancy: 7
; WaveLimiterHint : 0
; COMPUTE_PGM_RSRC2:SCRATCH_EN: 0
; COMPUTE_PGM_RSRC2:USER_SGPR: 6
; COMPUTE_PGM_RSRC2:TRAP_HANDLER: 0
; COMPUTE_PGM_RSRC2:TGID_X_EN: 1
; COMPUTE_PGM_RSRC2:TGID_Y_EN: 0
; COMPUTE_PGM_RSRC2:TGID_Z_EN: 0
; COMPUTE_PGM_RSRC2:TIDIG_COMP_CNT: 0
	.section	.text._Z16sort_keys_valuesILj256ELj8EtcN10test_utils4lessEEvPT1_PT2_T3_,"axG",@progbits,_Z16sort_keys_valuesILj256ELj8EtcN10test_utils4lessEEvPT1_PT2_T3_,comdat
	.protected	_Z16sort_keys_valuesILj256ELj8EtcN10test_utils4lessEEvPT1_PT2_T3_ ; -- Begin function _Z16sort_keys_valuesILj256ELj8EtcN10test_utils4lessEEvPT1_PT2_T3_
	.globl	_Z16sort_keys_valuesILj256ELj8EtcN10test_utils4lessEEvPT1_PT2_T3_
	.p2align	8
	.type	_Z16sort_keys_valuesILj256ELj8EtcN10test_utils4lessEEvPT1_PT2_T3_,@function
_Z16sort_keys_valuesILj256ELj8EtcN10test_utils4lessEEvPT1_PT2_T3_: ; @_Z16sort_keys_valuesILj256ELj8EtcN10test_utils4lessEEvPT1_PT2_T3_
; %bb.0:
	s_load_dwordx4 s[0:3], s[4:5], 0x0
	s_lshl_b32 s4, s6, 11
	s_mov_b32 s5, 0
	s_lshl_b64 s[6:7], s[4:5], 1
	v_lshlrev_b32_e32 v8, 3, v0
	s_waitcnt lgkmcnt(0)
	s_add_u32 s0, s0, s6
	s_addc_u32 s1, s1, s7
	s_add_u32 s2, s2, s4
	s_addc_u32 s3, s3, 0
	v_lshlrev_b32_e32 v7, 4, v0
	global_load_dwordx2 v[5:6], v8, s[2:3]
	global_load_dwordx4 v[1:4], v7, s[0:1]
	s_mov_b32 s8, 0xc0c0001
	s_mov_b32 s13, 0x3020504
	;; [unrolled: 1-line block ×7, first 2 shown]
	s_movk_i32 s12, 0xff
	s_mov_b32 s7, 0x7060302
	s_mov_b32 s11, 0x3020107
	s_mov_b32 s14, 0xffff0000
	s_waitcnt vmcnt(1)
	v_lshrrev_b32_e32 v13, 16, v5
	s_waitcnt vmcnt(0)
	v_alignbit_b32 v0, v1, v1, 16
	v_perm_b32 v12, 0, v5, s8
	v_perm_b32 v6, v6, v6, s13
	v_cmp_lt_u16_sdwa vcc, v1, v1 src0_sel:WORD_1 src1_sel:DWORD
	v_perm_b32 v13, 0, v13, s8
	v_alignbit_b32 v10, v3, v3, 16
	v_cndmask_b32_e32 v12, v5, v12, vcc
	v_cndmask_b32_e32 v0, v1, v0, vcc
	v_perm_b32 v1, v6, v6, s9
	v_lshlrev_b32_e32 v13, 16, v13
	v_cmp_lt_u16_sdwa vcc, v3, v3 src0_sel:WORD_1 src1_sel:DWORD
	v_alignbit_b32 v9, v2, v2, 16
	v_bfi_b32 v5, s4, v12, v5
	v_cndmask_b32_e32 v1, v6, v1, vcc
	v_cndmask_b32_e32 v3, v3, v10, vcc
	v_and_or_b32 v6, v12, s4, v13
	v_cmp_lt_u16_sdwa vcc, v2, v2 src0_sel:WORD_1 src1_sel:DWORD
	v_alignbit_b32 v11, v4, v4, 16
	v_perm_b32 v10, v1, v1, s10
	v_cndmask_b32_e32 v5, v5, v6, vcc
	v_cndmask_b32_e32 v2, v2, v9, vcc
	v_cmp_lt_u16_sdwa vcc, v4, v4 src0_sel:WORD_1 src1_sel:DWORD
	v_cndmask_b32_e32 v1, v1, v10, vcc
	v_cndmask_b32_e32 v4, v4, v11, vcc
	v_perm_b32 v6, v5, v5, s5
	v_cmp_lt_u16_sdwa vcc, v2, v0 src0_sel:DWORD src1_sel:WORD_1
	v_perm_b32 v10, v2, v0, s6
	v_cndmask_b32_e32 v5, v5, v6, vcc
	v_lshlrev_b16_e32 v9, 8, v1
	v_perm_b32 v11, v2, v0, s7
	v_cndmask_b32_e32 v0, v0, v10, vcc
	v_and_b32_sdwa v10, v5, s12 dst_sel:DWORD dst_unused:UNUSED_PAD src0_sel:WORD_1 src1_sel:DWORD
	v_cndmask_b32_e32 v2, v2, v11, vcc
	v_or_b32_sdwa v9, v10, v9 dst_sel:WORD_1 dst_unused:UNUSED_PAD src0_sel:DWORD src1_sel:DWORD
	v_perm_b32 v6, v5, v1, s11
	v_perm_b32 v11, v3, v2, s7
	v_and_or_b32 v9, v5, s4, v9
	v_cmp_lt_u16_sdwa vcc, v3, v2 src0_sel:DWORD src1_sel:WORD_1
	v_perm_b32 v12, v3, v2, s6
	v_cndmask_b32_e32 v5, v5, v9, vcc
	v_cndmask_b32_e32 v1, v1, v6, vcc
	;; [unrolled: 1-line block ×4, first 2 shown]
	v_perm_b32 v6, v4, v3, s7
	v_perm_b32 v9, v4, v3, s6
	;; [unrolled: 1-line block ×4, first 2 shown]
	v_cmp_lt_u16_sdwa vcc, v4, v3 src0_sel:DWORD src1_sel:WORD_1
	v_and_or_b32 v11, v5, s14, v11
	v_cndmask_b32_e32 v1, v1, v10, vcc
	v_cndmask_b32_e32 v3, v3, v9, vcc
	;; [unrolled: 1-line block ×3, first 2 shown]
	v_cmp_lt_u16_sdwa vcc, v0, v0 src0_sel:WORD_1 src1_sel:DWORD
	v_alignbit_b32 v13, v0, v0, 16
	v_cndmask_b32_e32 v5, v5, v11, vcc
	v_cndmask_b32_e32 v0, v0, v13, vcc
	v_perm_b32 v6, v1, v1, s9
	v_lshrrev_b32_e32 v11, 16, v5
	v_cmp_lt_u16_sdwa vcc, v3, v3 src0_sel:WORD_1 src1_sel:DWORD
	v_alignbit_b32 v9, v3, v3, 16
	v_cndmask_b32_e32 v1, v1, v6, vcc
	v_perm_b32 v6, 0, v11, s8
	v_alignbit_b32 v10, v4, v4, 16
	v_cndmask_b32_e32 v3, v3, v9, vcc
	v_perm_b32 v9, v1, v1, s10
	v_lshlrev_b32_e32 v6, 16, v6
	v_cmp_lt_u16_sdwa vcc, v4, v4 src0_sel:WORD_1 src1_sel:DWORD
	v_alignbit_b32 v12, v2, v2, 16
	v_cndmask_b32_e32 v1, v1, v9, vcc
	v_cndmask_b32_e32 v4, v4, v10, vcc
	v_and_or_b32 v6, v5, s4, v6
	v_cmp_lt_u16_sdwa vcc, v2, v2 src0_sel:WORD_1 src1_sel:DWORD
	v_cndmask_b32_e32 v5, v5, v6, vcc
	v_cndmask_b32_e32 v2, v2, v12, vcc
	v_perm_b32 v6, v5, v5, s5
	v_cmp_lt_u16_sdwa vcc, v2, v0 src0_sel:DWORD src1_sel:WORD_1
	v_perm_b32 v10, v2, v0, s7
	v_cndmask_b32_e32 v5, v5, v6, vcc
	v_lshlrev_b16_e32 v9, 8, v1
	v_perm_b32 v11, v2, v0, s6
	v_cndmask_b32_e32 v2, v2, v10, vcc
	v_and_b32_sdwa v10, v5, s12 dst_sel:DWORD dst_unused:UNUSED_PAD src0_sel:WORD_1 src1_sel:DWORD
	v_or_b32_sdwa v9, v10, v9 dst_sel:WORD_1 dst_unused:UNUSED_PAD src0_sel:DWORD src1_sel:DWORD
	v_cndmask_b32_e32 v0, v0, v11, vcc
	v_perm_b32 v6, v5, v1, s11
	v_perm_b32 v11, v3, v2, s7
	v_and_or_b32 v9, v5, s4, v9
	v_cmp_lt_u16_sdwa vcc, v3, v2 src0_sel:DWORD src1_sel:WORD_1
	v_perm_b32 v10, v3, v2, s6
	v_cndmask_b32_e32 v5, v5, v9, vcc
	v_cndmask_b32_e32 v1, v1, v6, vcc
	;; [unrolled: 1-line block ×4, first 2 shown]
	v_perm_b32 v6, v4, v3, s7
	v_perm_b32 v9, v4, v3, s6
	;; [unrolled: 1-line block ×4, first 2 shown]
	v_cmp_lt_u16_sdwa vcc, v4, v3 src0_sel:DWORD src1_sel:WORD_1
	v_and_or_b32 v11, v5, s14, v11
	v_cndmask_b32_e32 v1, v1, v10, vcc
	v_cndmask_b32_e32 v3, v3, v9, vcc
	;; [unrolled: 1-line block ×3, first 2 shown]
	v_cmp_lt_u16_sdwa vcc, v0, v0 src0_sel:WORD_1 src1_sel:DWORD
	v_cndmask_b32_e32 v5, v5, v11, vcc
	v_lshrrev_b32_e32 v6, 16, v5
	v_perm_b32 v6, 0, v6, s8
	v_alignbit_b32 v9, v0, v0, 16
	v_lshlrev_b32_e32 v6, 16, v6
	v_cndmask_b32_e32 v0, v0, v9, vcc
	v_and_or_b32 v6, v5, s4, v6
	v_cmp_lt_u16_sdwa vcc, v2, v2 src0_sel:WORD_1 src1_sel:DWORD
	v_alignbit_b32 v9, v2, v2, 16
	v_cndmask_b32_e32 v5, v5, v6, vcc
	v_perm_b32 v6, v1, v1, s9
	v_cndmask_b32_e32 v2, v2, v9, vcc
	v_cmp_lt_u16_sdwa vcc, v3, v3 src0_sel:WORD_1 src1_sel:DWORD
	v_alignbit_b32 v9, v3, v3, 16
	v_cndmask_b32_e32 v1, v1, v6, vcc
	v_cndmask_b32_e32 v3, v3, v9, vcc
	v_alignbit_b32 v6, v4, v4, 16
	v_perm_b32 v9, v1, v1, s10
	v_cmp_lt_u16_sdwa vcc, v4, v4 src0_sel:WORD_1 src1_sel:DWORD
	v_cndmask_b32_e32 v1, v1, v9, vcc
	v_cndmask_b32_e32 v4, v4, v6, vcc
	v_perm_b32 v6, v5, v5, s5
	v_cmp_lt_u16_sdwa vcc, v2, v0 src0_sel:DWORD src1_sel:WORD_1
	v_cndmask_b32_e32 v5, v5, v6, vcc
	v_and_b32_sdwa v9, v5, s12 dst_sel:DWORD dst_unused:UNUSED_PAD src0_sel:WORD_1 src1_sel:DWORD
	v_lshlrev_b16_e32 v10, 8, v1
	v_or_b32_sdwa v9, v9, v10 dst_sel:WORD_1 dst_unused:UNUSED_PAD src0_sel:DWORD src1_sel:DWORD
	v_perm_b32 v10, v2, v0, s7
	v_cndmask_b32_e32 v10, v2, v10, vcc
	v_perm_b32 v2, v2, v0, s6
	v_perm_b32 v6, v5, v1, s11
	v_cndmask_b32_e32 v0, v0, v2, vcc
	v_perm_b32 v2, v3, v10, s7
	v_and_or_b32 v9, v5, s4, v9
	v_cmp_lt_u16_sdwa vcc, v3, v10 src0_sel:DWORD src1_sel:WORD_1
	v_perm_b32 v11, v3, v10, s6
	v_cndmask_b32_e32 v5, v5, v9, vcc
	v_cndmask_b32_e32 v1, v1, v6, vcc
	;; [unrolled: 1-line block ×4, first 2 shown]
	v_perm_b32 v3, v4, v2, s7
	v_perm_b32 v9, v4, v2, s6
	;; [unrolled: 1-line block ×4, first 2 shown]
	v_cmp_lt_u16_sdwa vcc, v4, v2 src0_sel:DWORD src1_sel:WORD_1
	v_and_or_b32 v11, v5, s14, v11
	v_cndmask_b32_e32 v1, v1, v10, vcc
	v_cndmask_b32_e32 v2, v2, v9, vcc
	;; [unrolled: 1-line block ×3, first 2 shown]
	v_cmp_lt_u16_sdwa vcc, v0, v0 src0_sel:WORD_1 src1_sel:DWORD
	v_cndmask_b32_e32 v4, v5, v11, vcc
	v_lshrrev_b32_e32 v5, 16, v4
	v_perm_b32 v5, 0, v5, s8
	v_alignbit_b32 v9, v0, v0, 16
	v_lshlrev_b32_e32 v5, 16, v5
	v_cndmask_b32_e32 v0, v0, v9, vcc
	v_and_or_b32 v5, v4, s4, v5
	v_cmp_lt_u16_sdwa vcc, v6, v6 src0_sel:WORD_1 src1_sel:DWORD
	v_alignbit_b32 v9, v6, v6, 16
	v_cndmask_b32_e32 v4, v4, v5, vcc
	v_perm_b32 v5, v1, v1, s9
	v_cndmask_b32_e32 v6, v6, v9, vcc
	v_cmp_lt_u16_sdwa vcc, v2, v2 src0_sel:WORD_1 src1_sel:DWORD
	v_alignbit_b32 v9, v2, v2, 16
	v_cndmask_b32_e32 v1, v1, v5, vcc
	v_cndmask_b32_e32 v2, v2, v9, vcc
	v_alignbit_b32 v5, v3, v3, 16
	v_perm_b32 v9, v1, v1, s10
	v_cmp_lt_u16_sdwa vcc, v3, v3 src0_sel:WORD_1 src1_sel:DWORD
	v_cndmask_b32_e32 v1, v1, v9, vcc
	v_cndmask_b32_e32 v3, v3, v5, vcc
	v_perm_b32 v5, v4, v4, s5
	v_cmp_lt_u16_sdwa vcc, v6, v0 src0_sel:DWORD src1_sel:WORD_1
	v_cndmask_b32_e32 v4, v4, v5, vcc
	v_and_b32_sdwa v9, v4, s12 dst_sel:DWORD dst_unused:UNUSED_PAD src0_sel:WORD_1 src1_sel:DWORD
	v_lshlrev_b16_e32 v10, 8, v1
	v_or_b32_sdwa v9, v9, v10 dst_sel:WORD_1 dst_unused:UNUSED_PAD src0_sel:DWORD src1_sel:DWORD
	v_perm_b32 v10, v6, v0, s7
	v_cndmask_b32_e32 v10, v6, v10, vcc
	v_perm_b32 v6, v6, v0, s6
	v_cndmask_b32_e32 v0, v0, v6, vcc
	v_perm_b32 v6, v2, v10, s7
	v_cmp_lt_u16_sdwa vcc, v2, v10 src0_sel:DWORD src1_sel:WORD_1
	v_perm_b32 v5, v4, v1, s11
	v_perm_b32 v11, v2, v10, s6
	v_and_or_b32 v9, v4, s4, v9
	v_cndmask_b32_e32 v2, v2, v6, vcc
	v_cndmask_b32_e32 v4, v4, v9, vcc
	;; [unrolled: 1-line block ×4, first 2 shown]
	v_perm_b32 v6, v3, v2, s7
	v_perm_b32 v9, v3, v2, s6
	v_cmp_lt_u16_sdwa vcc, v3, v2 src0_sel:DWORD src1_sel:WORD_1
	v_perm_b32 v10, v5, v5, s5
	v_cndmask_b32_e32 v2, v2, v9, vcc
	v_cndmask_b32_e32 v3, v3, v6, vcc
	;; [unrolled: 1-line block ×3, first 2 shown]
	global_store_dwordx4 v7, v[0:3], s[0:1]
	global_store_dwordx2 v8, v[4:5], s[2:3]
	s_endpgm
	.section	.rodata,"a",@progbits
	.p2align	6, 0x0
	.amdhsa_kernel _Z16sort_keys_valuesILj256ELj8EtcN10test_utils4lessEEvPT1_PT2_T3_
		.amdhsa_group_segment_fixed_size 0
		.amdhsa_private_segment_fixed_size 0
		.amdhsa_kernarg_size 20
		.amdhsa_user_sgpr_count 6
		.amdhsa_user_sgpr_private_segment_buffer 1
		.amdhsa_user_sgpr_dispatch_ptr 0
		.amdhsa_user_sgpr_queue_ptr 0
		.amdhsa_user_sgpr_kernarg_segment_ptr 1
		.amdhsa_user_sgpr_dispatch_id 0
		.amdhsa_user_sgpr_flat_scratch_init 0
		.amdhsa_user_sgpr_private_segment_size 0
		.amdhsa_uses_dynamic_stack 0
		.amdhsa_system_sgpr_private_segment_wavefront_offset 0
		.amdhsa_system_sgpr_workgroup_id_x 1
		.amdhsa_system_sgpr_workgroup_id_y 0
		.amdhsa_system_sgpr_workgroup_id_z 0
		.amdhsa_system_sgpr_workgroup_info 0
		.amdhsa_system_vgpr_workitem_id 0
		.amdhsa_next_free_vgpr 14
		.amdhsa_next_free_sgpr 15
		.amdhsa_reserve_vcc 1
		.amdhsa_reserve_flat_scratch 0
		.amdhsa_float_round_mode_32 0
		.amdhsa_float_round_mode_16_64 0
		.amdhsa_float_denorm_mode_32 3
		.amdhsa_float_denorm_mode_16_64 3
		.amdhsa_dx10_clamp 1
		.amdhsa_ieee_mode 1
		.amdhsa_fp16_overflow 0
		.amdhsa_exception_fp_ieee_invalid_op 0
		.amdhsa_exception_fp_denorm_src 0
		.amdhsa_exception_fp_ieee_div_zero 0
		.amdhsa_exception_fp_ieee_overflow 0
		.amdhsa_exception_fp_ieee_underflow 0
		.amdhsa_exception_fp_ieee_inexact 0
		.amdhsa_exception_int_div_zero 0
	.end_amdhsa_kernel
	.section	.text._Z16sort_keys_valuesILj256ELj8EtcN10test_utils4lessEEvPT1_PT2_T3_,"axG",@progbits,_Z16sort_keys_valuesILj256ELj8EtcN10test_utils4lessEEvPT1_PT2_T3_,comdat
.Lfunc_end21:
	.size	_Z16sort_keys_valuesILj256ELj8EtcN10test_utils4lessEEvPT1_PT2_T3_, .Lfunc_end21-_Z16sort_keys_valuesILj256ELj8EtcN10test_utils4lessEEvPT1_PT2_T3_
                                        ; -- End function
	.set _Z16sort_keys_valuesILj256ELj8EtcN10test_utils4lessEEvPT1_PT2_T3_.num_vgpr, 14
	.set _Z16sort_keys_valuesILj256ELj8EtcN10test_utils4lessEEvPT1_PT2_T3_.num_agpr, 0
	.set _Z16sort_keys_valuesILj256ELj8EtcN10test_utils4lessEEvPT1_PT2_T3_.numbered_sgpr, 15
	.set _Z16sort_keys_valuesILj256ELj8EtcN10test_utils4lessEEvPT1_PT2_T3_.num_named_barrier, 0
	.set _Z16sort_keys_valuesILj256ELj8EtcN10test_utils4lessEEvPT1_PT2_T3_.private_seg_size, 0
	.set _Z16sort_keys_valuesILj256ELj8EtcN10test_utils4lessEEvPT1_PT2_T3_.uses_vcc, 1
	.set _Z16sort_keys_valuesILj256ELj8EtcN10test_utils4lessEEvPT1_PT2_T3_.uses_flat_scratch, 0
	.set _Z16sort_keys_valuesILj256ELj8EtcN10test_utils4lessEEvPT1_PT2_T3_.has_dyn_sized_stack, 0
	.set _Z16sort_keys_valuesILj256ELj8EtcN10test_utils4lessEEvPT1_PT2_T3_.has_recursion, 0
	.set _Z16sort_keys_valuesILj256ELj8EtcN10test_utils4lessEEvPT1_PT2_T3_.has_indirect_call, 0
	.section	.AMDGPU.csdata,"",@progbits
; Kernel info:
; codeLenInByte = 1448
; TotalNumSgprs: 19
; NumVgprs: 14
; ScratchSize: 0
; MemoryBound: 0
; FloatMode: 240
; IeeeMode: 1
; LDSByteSize: 0 bytes/workgroup (compile time only)
; SGPRBlocks: 2
; VGPRBlocks: 3
; NumSGPRsForWavesPerEU: 19
; NumVGPRsForWavesPerEU: 14
; Occupancy: 10
; WaveLimiterHint : 0
; COMPUTE_PGM_RSRC2:SCRATCH_EN: 0
; COMPUTE_PGM_RSRC2:USER_SGPR: 6
; COMPUTE_PGM_RSRC2:TRAP_HANDLER: 0
; COMPUTE_PGM_RSRC2:TGID_X_EN: 1
; COMPUTE_PGM_RSRC2:TGID_Y_EN: 0
; COMPUTE_PGM_RSRC2:TGID_Z_EN: 0
; COMPUTE_PGM_RSRC2:TIDIG_COMP_CNT: 0
	.section	.text._Z16sort_keys_valuesILj256ELj7EisN10test_utils4lessEEvPT1_PT2_T3_,"axG",@progbits,_Z16sort_keys_valuesILj256ELj7EisN10test_utils4lessEEvPT1_PT2_T3_,comdat
	.protected	_Z16sort_keys_valuesILj256ELj7EisN10test_utils4lessEEvPT1_PT2_T3_ ; -- Begin function _Z16sort_keys_valuesILj256ELj7EisN10test_utils4lessEEvPT1_PT2_T3_
	.globl	_Z16sort_keys_valuesILj256ELj7EisN10test_utils4lessEEvPT1_PT2_T3_
	.p2align	8
	.type	_Z16sort_keys_valuesILj256ELj7EisN10test_utils4lessEEvPT1_PT2_T3_,@function
_Z16sort_keys_valuesILj256ELj7EisN10test_utils4lessEEvPT1_PT2_T3_: ; @_Z16sort_keys_valuesILj256ELj7EisN10test_utils4lessEEvPT1_PT2_T3_
; %bb.0:
	s_load_dwordx4 s[0:3], s[4:5], 0x0
	s_mul_i32 s4, s6, 0x700
	s_mov_b32 s5, 0
	s_lshl_b64 s[6:7], s[4:5], 2
	v_mul_u32_u24_e32 v4, 7, v0
	s_waitcnt lgkmcnt(0)
	s_add_u32 s0, s0, s6
	s_addc_u32 s1, s1, s7
	s_lshl_b64 s[4:5], s[4:5], 1
	v_lshlrev_b32_e32 v12, 2, v4
	s_add_u32 s2, s2, s4
	global_load_dwordx3 v[7:9], v12, s[0:1] offset:16
	global_load_dwordx4 v[0:3], v12, s[0:1]
	s_addc_u32 s3, s3, s5
	v_lshlrev_b32_e32 v13, 1, v4
	global_load_dwordx3 v[4:6], v13, s[2:3]
	global_load_ushort v16, v13, s[2:3] offset:12
	s_waitcnt vmcnt(2)
	v_cmp_lt_i32_e32 vcc, v1, v0
	v_mov_b32_e32 v14, v0
	v_mov_b32_e32 v10, v0
	;; [unrolled: 1-line block ×3, first 2 shown]
	s_and_saveexec_b64 s[4:5], vcc
	s_cbranch_execz .LBB22_2
; %bb.1:
	s_waitcnt vmcnt(1)
	v_alignbit_b32 v4, v4, v4, 16
	v_mov_b32_e32 v10, v1
	v_mov_b32_e32 v14, v1
	;; [unrolled: 1-line block ×4, first 2 shown]
.LBB22_2:
	s_or_b64 exec, exec, s[4:5]
	v_cmp_lt_i32_e32 vcc, v3, v2
	s_waitcnt vmcnt(1)
	v_alignbit_b32 v17, v5, v5, 16
	v_cndmask_b32_e32 v15, v3, v2, vcc
	v_cndmask_b32_e32 v0, v2, v3, vcc
	;; [unrolled: 1-line block ×3, first 2 shown]
	v_min_i32_e32 v17, v3, v2
	v_alignbit_b32 v3, v6, v6, 16
	v_cmp_lt_i32_e32 vcc, v8, v7
	v_cndmask_b32_e32 v2, v8, v7, vcc
	v_cndmask_b32_e32 v7, v7, v8, vcc
	;; [unrolled: 1-line block ×3, first 2 shown]
	v_cmp_lt_i32_e32 vcc, v17, v1
	v_mov_b32_e32 v3, v17
	s_and_saveexec_b64 s[4:5], vcc
	s_xor_b64 s[4:5], exec, s[4:5]
	s_cbranch_execz .LBB22_4
; %bb.3:
	s_mov_b32 s6, 0x5040100
	v_perm_b32 v8, v5, v4, s6
	s_mov_b32 s6, 0x7060302
	s_waitcnt vmcnt(0)
	v_and_b32_e32 v16, 0xffff, v16
	v_perm_b32 v5, v5, v4, s6
	v_mov_b32_e32 v11, v17
	v_mov_b32_e32 v0, v1
	;; [unrolled: 1-line block ×5, first 2 shown]
.LBB22_4:
	s_or_b64 exec, exec, s[4:5]
	s_mov_b32 s4, 0x7060302
	s_waitcnt vmcnt(0)
	v_and_b32_e32 v8, 0xffff, v16
	v_perm_b32 v17, v6, v5, s4
	s_mov_b32 s4, 0x5040100
	v_cmp_lt_i32_e32 vcc, v7, v15
	v_perm_b32 v18, v6, v5, s4
	v_cndmask_b32_e32 v8, v8, v16, vcc
	v_cndmask_b32_e32 v6, v6, v17, vcc
	;; [unrolled: 1-line block ×5, first 2 shown]
	v_perm_b32 v17, v8, v6, s4
	v_alignbit_b32 v16, s0, v6, 16
	v_cmp_lt_i32_e32 vcc, v9, v2
	v_cndmask_b32_e32 v7, v9, v2, vcc
	v_cndmask_b32_e32 v2, v2, v9, vcc
	v_mov_b32_e32 v9, v19
	v_cndmask_b32_e32 v16, v8, v16, vcc
	v_cndmask_b32_e32 v17, v6, v17, vcc
	v_cmp_lt_i32_e32 vcc, v1, v14
	v_mov_b32_e32 v8, v14
	s_and_saveexec_b64 s[4:5], vcc
; %bb.5:
	v_alignbit_b32 v4, v4, v4, 16
	v_mov_b32_e32 v10, v1
	v_mov_b32_e32 v11, v14
	;; [unrolled: 1-line block ×4, first 2 shown]
; %bb.6:
	s_or_b64 exec, exec, s[4:5]
	v_cmp_lt_i32_e32 vcc, v15, v3
	v_alignbit_b32 v18, v5, v5, 16
	v_cndmask_b32_e32 v14, v15, v3, vcc
	v_cndmask_b32_e32 v0, v0, v15, vcc
	;; [unrolled: 1-line block ×3, first 2 shown]
	v_cmp_lt_i32_e32 vcc, v2, v9
	v_min_i32_e32 v3, v15, v3
	v_alignbit_b32 v5, v17, v17, 16
	v_cndmask_b32_e32 v20, v2, v9, vcc
	v_mov_b32_e32 v6, s1
	v_mov_b32_e32 v19, s3
	v_cndmask_b32_e32 v9, v9, v2, vcc
	v_mov_b32_e32 v15, v14
	v_mov_b32_e32 v14, v20
	v_cndmask_b32_e32 v20, v17, v5, vcc
	v_cmp_lt_i32_e32 vcc, v3, v1
	v_mov_b32_e32 v17, v3
	s_and_saveexec_b64 s[4:5], vcc
	s_cbranch_execz .LBB22_8
; %bb.7:
	s_mov_b32 s1, 0x5040100
	v_perm_b32 v2, v18, v4, s1
	s_mov_b32 s1, 0x7060302
	v_and_b32_e32 v16, 0xffff, v16
	v_perm_b32 v18, v18, v4, s1
	v_mov_b32_e32 v11, v3
	v_mov_b32_e32 v0, v1
	;; [unrolled: 1-line block ×5, first 2 shown]
.LBB22_8:
	s_or_b64 exec, exec, s[4:5]
	v_add_co_u32_e32 v5, vcc, s0, v12
	v_addc_co_u32_e32 v6, vcc, 0, v6, vcc
	v_add_co_u32_e32 v2, vcc, s2, v13
	s_mov_b32 s0, 0x7060302
	v_addc_co_u32_e32 v3, vcc, 0, v19, vcc
	v_perm_b32 v13, v20, v18, s0
	s_mov_b32 s0, 0x5040100
	v_and_b32_e32 v12, 0xffff, v16
	v_perm_b32 v19, v20, v18, s0
	v_cmp_lt_i32_e32 vcc, v9, v15
	v_cndmask_b32_e32 v21, v9, v15, vcc
	v_cndmask_b32_e32 v15, v15, v9, vcc
	;; [unrolled: 1-line block ×5, first 2 shown]
	v_cmp_lt_i32_e32 vcc, v7, v14
	v_perm_b32 v16, v12, v13, s0
	v_alignbit_b32 v19, s0, v13, 16
	v_cndmask_b32_e32 v20, v7, v14, vcc
	v_cndmask_b32_e32 v14, v14, v7, vcc
	v_mov_b32_e32 v9, v21
	v_mov_b32_e32 v7, v20
	v_cndmask_b32_e32 v12, v12, v19, vcc
	v_cndmask_b32_e32 v19, v13, v16, vcc
	v_cmp_lt_i32_e32 vcc, v1, v8
	v_mov_b32_e32 v13, v8
	s_and_saveexec_b64 s[0:1], vcc
; %bb.9:
	v_alignbit_b32 v4, v4, v4, 16
	v_mov_b32_e32 v10, v1
	v_mov_b32_e32 v11, v8
	;; [unrolled: 1-line block ×4, first 2 shown]
; %bb.10:
	s_or_b64 exec, exec, s[0:1]
	v_cmp_lt_i32_e32 vcc, v15, v17
	v_alignbit_b32 v8, v18, v18, 16
	v_cndmask_b32_e32 v16, v15, v17, vcc
	v_cndmask_b32_e32 v0, v0, v15, vcc
	;; [unrolled: 1-line block ×3, first 2 shown]
	v_cmp_lt_i32_e32 vcc, v14, v9
	v_min_i32_e32 v18, v15, v17
	v_alignbit_b32 v15, v19, v19, 16
	v_cndmask_b32_e32 v17, v14, v9, vcc
	v_cndmask_b32_e32 v9, v9, v14, vcc
	v_mov_b32_e32 v14, v17
	v_cndmask_b32_e32 v15, v19, v15, vcc
	v_cmp_lt_i32_e32 vcc, v18, v1
	v_mov_b32_e32 v17, v18
	s_and_saveexec_b64 s[0:1], vcc
	s_cbranch_execz .LBB22_12
; %bb.11:
	s_mov_b32 s2, 0x5040100
	v_perm_b32 v19, v8, v4, s2
	s_mov_b32 s2, 0x7060302
	v_and_b32_e32 v12, 0xffff, v12
	v_perm_b32 v8, v8, v4, s2
	v_mov_b32_e32 v11, v18
	v_mov_b32_e32 v0, v1
	;; [unrolled: 1-line block ×5, first 2 shown]
.LBB22_12:
	s_or_b64 exec, exec, s[0:1]
	v_cmp_lt_i32_e32 vcc, v1, v13
	v_cndmask_b32_e32 v11, v11, v13, vcc
	v_cmp_lt_i32_e64 s[0:1], v9, v16
	v_and_b32_e32 v13, 0xffff, v12
	s_mov_b32 s4, 0x5040100
	v_cndmask_b32_e32 v10, v10, v1, vcc
	v_cndmask_b32_e64 v1, v9, v16, s[0:1]
	v_cndmask_b32_e64 v9, v16, v9, s[0:1]
	;; [unrolled: 1-line block ×3, first 2 shown]
	s_mov_b32 s2, 0x7060302
	v_perm_b32 v12, v15, v8, s4
	v_cndmask_b32_e64 v18, v8, v12, s[0:1]
	v_perm_b32 v8, v15, v8, s2
	v_cndmask_b32_e64 v8, v15, v8, s[0:1]
	v_cmp_lt_i32_e64 s[0:1], v9, v17
	v_cmp_lt_i32_e64 s[2:3], v7, v14
	v_cndmask_b32_e64 v13, v9, v17, s[0:1]
	v_cndmask_b32_e64 v12, v0, v9, s[0:1]
	;; [unrolled: 1-line block ×4, first 2 shown]
	v_alignbit_b32 v7, s0, v8, 16
	v_cndmask_b32_e64 v17, v16, v7, s[2:3]
	v_perm_b32 v7, v16, v8, s4
	v_cndmask_b32_e64 v16, v8, v7, s[2:3]
	v_alignbit_b32 v7, v4, v4, 16
	v_cndmask_b32_e32 v14, v4, v7, vcc
	v_alignbit_b32 v4, v18, v18, 16
	v_cndmask_b32_e64 v15, v18, v4, s[0:1]
	v_alignbit_b32 v4, v16, v16, 16
	v_cmp_lt_i32_e32 vcc, v0, v1
	v_cndmask_b32_e32 v8, v0, v1, vcc
	v_cndmask_b32_e32 v7, v1, v0, vcc
	;; [unrolled: 1-line block ×3, first 2 shown]
	global_store_dwordx4 v[5:6], v[10:13], off
	global_store_dwordx3 v[5:6], v[7:9], off offset:16
	global_store_short v[2:3], v17, off offset:12
	global_store_dwordx3 v[2:3], v[14:16], off
	s_endpgm
	.section	.rodata,"a",@progbits
	.p2align	6, 0x0
	.amdhsa_kernel _Z16sort_keys_valuesILj256ELj7EisN10test_utils4lessEEvPT1_PT2_T3_
		.amdhsa_group_segment_fixed_size 0
		.amdhsa_private_segment_fixed_size 0
		.amdhsa_kernarg_size 20
		.amdhsa_user_sgpr_count 6
		.amdhsa_user_sgpr_private_segment_buffer 1
		.amdhsa_user_sgpr_dispatch_ptr 0
		.amdhsa_user_sgpr_queue_ptr 0
		.amdhsa_user_sgpr_kernarg_segment_ptr 1
		.amdhsa_user_sgpr_dispatch_id 0
		.amdhsa_user_sgpr_flat_scratch_init 0
		.amdhsa_user_sgpr_private_segment_size 0
		.amdhsa_uses_dynamic_stack 0
		.amdhsa_system_sgpr_private_segment_wavefront_offset 0
		.amdhsa_system_sgpr_workgroup_id_x 1
		.amdhsa_system_sgpr_workgroup_id_y 0
		.amdhsa_system_sgpr_workgroup_id_z 0
		.amdhsa_system_sgpr_workgroup_info 0
		.amdhsa_system_vgpr_workitem_id 0
		.amdhsa_next_free_vgpr 22
		.amdhsa_next_free_sgpr 8
		.amdhsa_reserve_vcc 1
		.amdhsa_reserve_flat_scratch 0
		.amdhsa_float_round_mode_32 0
		.amdhsa_float_round_mode_16_64 0
		.amdhsa_float_denorm_mode_32 3
		.amdhsa_float_denorm_mode_16_64 3
		.amdhsa_dx10_clamp 1
		.amdhsa_ieee_mode 1
		.amdhsa_fp16_overflow 0
		.amdhsa_exception_fp_ieee_invalid_op 0
		.amdhsa_exception_fp_denorm_src 0
		.amdhsa_exception_fp_ieee_div_zero 0
		.amdhsa_exception_fp_ieee_overflow 0
		.amdhsa_exception_fp_ieee_underflow 0
		.amdhsa_exception_fp_ieee_inexact 0
		.amdhsa_exception_int_div_zero 0
	.end_amdhsa_kernel
	.section	.text._Z16sort_keys_valuesILj256ELj7EisN10test_utils4lessEEvPT1_PT2_T3_,"axG",@progbits,_Z16sort_keys_valuesILj256ELj7EisN10test_utils4lessEEvPT1_PT2_T3_,comdat
.Lfunc_end22:
	.size	_Z16sort_keys_valuesILj256ELj7EisN10test_utils4lessEEvPT1_PT2_T3_, .Lfunc_end22-_Z16sort_keys_valuesILj256ELj7EisN10test_utils4lessEEvPT1_PT2_T3_
                                        ; -- End function
	.set _Z16sort_keys_valuesILj256ELj7EisN10test_utils4lessEEvPT1_PT2_T3_.num_vgpr, 22
	.set _Z16sort_keys_valuesILj256ELj7EisN10test_utils4lessEEvPT1_PT2_T3_.num_agpr, 0
	.set _Z16sort_keys_valuesILj256ELj7EisN10test_utils4lessEEvPT1_PT2_T3_.numbered_sgpr, 8
	.set _Z16sort_keys_valuesILj256ELj7EisN10test_utils4lessEEvPT1_PT2_T3_.num_named_barrier, 0
	.set _Z16sort_keys_valuesILj256ELj7EisN10test_utils4lessEEvPT1_PT2_T3_.private_seg_size, 0
	.set _Z16sort_keys_valuesILj256ELj7EisN10test_utils4lessEEvPT1_PT2_T3_.uses_vcc, 1
	.set _Z16sort_keys_valuesILj256ELj7EisN10test_utils4lessEEvPT1_PT2_T3_.uses_flat_scratch, 0
	.set _Z16sort_keys_valuesILj256ELj7EisN10test_utils4lessEEvPT1_PT2_T3_.has_dyn_sized_stack, 0
	.set _Z16sort_keys_valuesILj256ELj7EisN10test_utils4lessEEvPT1_PT2_T3_.has_recursion, 0
	.set _Z16sort_keys_valuesILj256ELj7EisN10test_utils4lessEEvPT1_PT2_T3_.has_indirect_call, 0
	.section	.AMDGPU.csdata,"",@progbits
; Kernel info:
; codeLenInByte = 1160
; TotalNumSgprs: 12
; NumVgprs: 22
; ScratchSize: 0
; MemoryBound: 0
; FloatMode: 240
; IeeeMode: 1
; LDSByteSize: 0 bytes/workgroup (compile time only)
; SGPRBlocks: 1
; VGPRBlocks: 5
; NumSGPRsForWavesPerEU: 12
; NumVGPRsForWavesPerEU: 22
; Occupancy: 10
; WaveLimiterHint : 0
; COMPUTE_PGM_RSRC2:SCRATCH_EN: 0
; COMPUTE_PGM_RSRC2:USER_SGPR: 6
; COMPUTE_PGM_RSRC2:TRAP_HANDLER: 0
; COMPUTE_PGM_RSRC2:TGID_X_EN: 1
; COMPUTE_PGM_RSRC2:TGID_Y_EN: 0
; COMPUTE_PGM_RSRC2:TGID_Z_EN: 0
; COMPUTE_PGM_RSRC2:TIDIG_COMP_CNT: 0
	.section	.text._Z16sort_keys_valuesILj256ELj6EfcN10test_utils7greaterEEvPT1_PT2_T3_,"axG",@progbits,_Z16sort_keys_valuesILj256ELj6EfcN10test_utils7greaterEEvPT1_PT2_T3_,comdat
	.protected	_Z16sort_keys_valuesILj256ELj6EfcN10test_utils7greaterEEvPT1_PT2_T3_ ; -- Begin function _Z16sort_keys_valuesILj256ELj6EfcN10test_utils7greaterEEvPT1_PT2_T3_
	.globl	_Z16sort_keys_valuesILj256ELj6EfcN10test_utils7greaterEEvPT1_PT2_T3_
	.p2align	8
	.type	_Z16sort_keys_valuesILj256ELj6EfcN10test_utils7greaterEEvPT1_PT2_T3_,@function
_Z16sort_keys_valuesILj256ELj6EfcN10test_utils7greaterEEvPT1_PT2_T3_: ; @_Z16sort_keys_valuesILj256ELj6EfcN10test_utils7greaterEEvPT1_PT2_T3_
; %bb.0:
	s_load_dwordx4 s[0:3], s[4:5], 0x0
	s_mul_i32 s4, s6, 0x600
	s_mov_b32 s5, 0
	s_lshl_b64 s[6:7], s[4:5], 2
	v_mul_u32_u24_e32 v6, 6, v0
	s_waitcnt lgkmcnt(0)
	s_add_u32 s0, s0, s6
	s_addc_u32 s1, s1, s7
	s_add_u32 s2, s2, s4
	s_addc_u32 s3, s3, 0
	v_lshlrev_b32_e32 v9, 2, v6
	global_load_dword v7, v6, s[2:3]
	global_load_ushort v8, v6, s[2:3] offset:4
	global_load_dwordx4 v[0:3], v9, s[0:1]
	global_load_dwordx2 v[4:5], v9, s[0:1] offset:16
	s_mov_b32 s4, 0xc0c0001
	s_mov_b32 s5, 0xffff
	s_mov_b32 s6, 0x7050604
	s_movk_i32 s7, 0xff
	s_mov_b32 s8, 0xffff0000
	s_waitcnt vmcnt(3)
	v_perm_b32 v10, 0, v7, s4
	v_lshrrev_b32_e32 v12, 16, v7
	s_waitcnt vmcnt(1)
	v_cmp_gt_f32_e32 vcc, v1, v0
	v_and_b32_e32 v11, 0xffff, v8
	v_perm_b32 v8, 0, v8, s4
	v_cndmask_b32_e32 v10, v7, v10, vcc
	v_perm_b32 v12, 0, v12, s4
	v_cndmask_b32_e32 v13, v0, v1, vcc
	v_cndmask_b32_e32 v0, v1, v0, vcc
	s_waitcnt vmcnt(0)
	v_cmp_gt_f32_e32 vcc, v5, v4
	v_cndmask_b32_e32 v1, v11, v8, vcc
	v_cndmask_b32_e32 v8, v5, v4, vcc
	;; [unrolled: 1-line block ×3, first 2 shown]
	v_bfi_b32 v5, s5, v10, v7
	v_lshlrev_b32_e32 v7, 16, v12
	v_and_or_b32 v7, v10, s5, v7
	v_cmp_gt_f32_e32 vcc, v3, v2
	v_cndmask_b32_e32 v5, v5, v7, vcc
	v_cndmask_b32_e32 v7, v3, v2, vcc
	;; [unrolled: 1-line block ×3, first 2 shown]
	v_perm_b32 v3, v5, v5, s6
	v_cmp_gt_f32_e32 vcc, v2, v0
	v_cndmask_b32_e32 v3, v5, v3, vcc
	v_and_b32_e32 v11, 0xffffff00, v1
	v_lshlrev_b16_e32 v12, 8, v1
	v_and_b32_sdwa v10, v3, s7 dst_sel:DWORD dst_unused:UNUSED_PAD src0_sel:WORD_1 src1_sel:DWORD
	v_cndmask_b32_e32 v5, v2, v0, vcc
	v_cndmask_b32_e32 v0, v0, v2, vcc
	v_or_b32_sdwa v2, v3, v11 dst_sel:DWORD dst_unused:UNUSED_PAD src0_sel:BYTE_3 src1_sel:DWORD
	v_or_b32_sdwa v10, v10, v12 dst_sel:WORD_1 dst_unused:UNUSED_PAD src0_sel:DWORD src1_sel:DWORD
	v_and_b32_e32 v2, 0xffff, v2
	v_and_or_b32 v10, v3, s5, v10
	v_cmp_gt_f32_e32 vcc, v4, v7
	v_cndmask_b32_e32 v3, v3, v10, vcc
	v_cndmask_b32_e32 v1, v1, v2, vcc
	;; [unrolled: 1-line block ×4, first 2 shown]
	v_perm_b32 v7, 0, v3, s4
	v_perm_b32 v10, 0, v1, s4
	v_cmp_gt_f32_e32 vcc, v8, v2
	v_and_or_b32 v7, v3, s8, v7
	v_cndmask_b32_e32 v1, v1, v10, vcc
	v_cndmask_b32_e32 v10, v8, v2, vcc
	;; [unrolled: 1-line block ×3, first 2 shown]
	v_cmp_gt_f32_e32 vcc, v0, v13
	v_cndmask_b32_e32 v3, v3, v7, vcc
	v_lshrrev_b32_e32 v12, 16, v3
	v_perm_b32 v12, 0, v12, s4
	v_lshlrev_b32_e32 v12, 16, v12
	v_cndmask_b32_e32 v7, v13, v0, vcc
	v_cndmask_b32_e32 v0, v0, v13, vcc
	v_and_or_b32 v12, v3, s5, v12
	v_cmp_gt_f32_e32 vcc, v4, v5
	v_cndmask_b32_e32 v3, v3, v12, vcc
	v_cndmask_b32_e32 v12, v4, v5, vcc
	;; [unrolled: 1-line block ×3, first 2 shown]
	v_perm_b32 v5, v3, v3, s6
	v_cmp_gt_f32_e32 vcc, v4, v0
	v_cndmask_b32_e32 v3, v3, v5, vcc
	v_and_b32_e32 v8, 0xffffff00, v1
	v_lshlrev_b16_e32 v11, 8, v1
	v_and_b32_sdwa v5, v3, s7 dst_sel:DWORD dst_unused:UNUSED_PAD src0_sel:WORD_1 src1_sel:DWORD
	v_cndmask_b32_e32 v13, v4, v0, vcc
	v_cndmask_b32_e32 v4, v0, v4, vcc
	v_or_b32_sdwa v0, v3, v8 dst_sel:DWORD dst_unused:UNUSED_PAD src0_sel:BYTE_3 src1_sel:DWORD
	v_or_b32_sdwa v5, v5, v11 dst_sel:WORD_1 dst_unused:UNUSED_PAD src0_sel:DWORD src1_sel:DWORD
	v_and_b32_e32 v0, 0xffff, v0
	v_and_or_b32 v5, v3, s5, v5
	v_cmp_gt_f32_e32 vcc, v2, v12
	v_cndmask_b32_e32 v3, v3, v5, vcc
	v_cndmask_b32_e32 v0, v1, v0, vcc
	;; [unrolled: 1-line block ×4, first 2 shown]
	v_perm_b32 v5, 0, v3, s4
	v_perm_b32 v8, 0, v0, s4
	v_cmp_gt_f32_e32 vcc, v10, v1
	v_and_or_b32 v11, v3, s8, v5
	v_cndmask_b32_e32 v8, v0, v8, vcc
	v_cndmask_b32_e32 v5, v10, v1, vcc
	;; [unrolled: 1-line block ×3, first 2 shown]
	v_cmp_gt_f32_e32 vcc, v4, v7
	v_cndmask_b32_e32 v1, v3, v11, vcc
	v_lshrrev_b32_e32 v11, 16, v1
	v_perm_b32 v11, 0, v11, s4
	v_lshlrev_b32_e32 v11, 16, v11
	v_cndmask_b32_e32 v0, v7, v4, vcc
	v_cndmask_b32_e32 v3, v4, v7, vcc
	v_and_or_b32 v11, v1, s5, v11
	v_cmp_gt_f32_e32 vcc, v2, v13
	v_cndmask_b32_e32 v1, v1, v11, vcc
	v_cndmask_b32_e32 v12, v13, v2, vcc
	v_cndmask_b32_e32 v11, v2, v13, vcc
	v_perm_b32 v2, v1, v1, s6
	v_cmp_gt_f32_e32 vcc, v12, v3
	v_and_b32_e32 v4, 0xffffff00, v8
	v_cndmask_b32_e32 v13, v1, v2, vcc
	v_lshlrev_b16_e32 v7, 8, v8
	v_cndmask_b32_e32 v2, v12, v3, vcc
	v_cndmask_b32_e32 v1, v3, v12, vcc
	v_or_b32_sdwa v3, v13, v4 dst_sel:DWORD dst_unused:UNUSED_PAD src0_sel:BYTE_3 src1_sel:DWORD
	v_and_b32_sdwa v4, v13, s7 dst_sel:DWORD dst_unused:UNUSED_PAD src0_sel:WORD_1 src1_sel:DWORD
	v_or_b32_sdwa v4, v4, v7 dst_sel:WORD_1 dst_unused:UNUSED_PAD src0_sel:DWORD src1_sel:DWORD
	v_and_b32_e32 v3, 0xffff, v3
	v_cmp_gt_f32_e32 vcc, v10, v11
	v_and_or_b32 v4, v13, s5, v4
	v_cndmask_b32_e32 v8, v8, v3, vcc
	v_cndmask_b32_e32 v3, v11, v10, vcc
	;; [unrolled: 1-line block ×4, first 2 shown]
	global_store_dwordx4 v9, v[0:3], s[0:1]
	global_store_dwordx2 v9, v[4:5], s[0:1] offset:16
	v_mov_b32_e32 v1, 8
	v_lshrrev_b32_sdwa v1, v1, v8 dst_sel:BYTE_1 dst_unused:UNUSED_PAD src0_sel:DWORD src1_sel:DWORD
	v_lshrrev_b32_e32 v0, 16, v7
	s_mov_b32 s0, 0x7000504
	v_or_b32_sdwa v1, v8, v1 dst_sel:DWORD dst_unused:UNUSED_PAD src0_sel:BYTE_0 src1_sel:DWORD
	v_perm_b32 v0, v7, v0, s0
	global_store_short v6, v1, s[2:3] offset:4
	global_store_dword v6, v0, s[2:3]
	s_endpgm
	.section	.rodata,"a",@progbits
	.p2align	6, 0x0
	.amdhsa_kernel _Z16sort_keys_valuesILj256ELj6EfcN10test_utils7greaterEEvPT1_PT2_T3_
		.amdhsa_group_segment_fixed_size 0
		.amdhsa_private_segment_fixed_size 0
		.amdhsa_kernarg_size 20
		.amdhsa_user_sgpr_count 6
		.amdhsa_user_sgpr_private_segment_buffer 1
		.amdhsa_user_sgpr_dispatch_ptr 0
		.amdhsa_user_sgpr_queue_ptr 0
		.amdhsa_user_sgpr_kernarg_segment_ptr 1
		.amdhsa_user_sgpr_dispatch_id 0
		.amdhsa_user_sgpr_flat_scratch_init 0
		.amdhsa_user_sgpr_private_segment_size 0
		.amdhsa_uses_dynamic_stack 0
		.amdhsa_system_sgpr_private_segment_wavefront_offset 0
		.amdhsa_system_sgpr_workgroup_id_x 1
		.amdhsa_system_sgpr_workgroup_id_y 0
		.amdhsa_system_sgpr_workgroup_id_z 0
		.amdhsa_system_sgpr_workgroup_info 0
		.amdhsa_system_vgpr_workitem_id 0
		.amdhsa_next_free_vgpr 14
		.amdhsa_next_free_sgpr 9
		.amdhsa_reserve_vcc 1
		.amdhsa_reserve_flat_scratch 0
		.amdhsa_float_round_mode_32 0
		.amdhsa_float_round_mode_16_64 0
		.amdhsa_float_denorm_mode_32 3
		.amdhsa_float_denorm_mode_16_64 3
		.amdhsa_dx10_clamp 1
		.amdhsa_ieee_mode 1
		.amdhsa_fp16_overflow 0
		.amdhsa_exception_fp_ieee_invalid_op 0
		.amdhsa_exception_fp_denorm_src 0
		.amdhsa_exception_fp_ieee_div_zero 0
		.amdhsa_exception_fp_ieee_overflow 0
		.amdhsa_exception_fp_ieee_underflow 0
		.amdhsa_exception_fp_ieee_inexact 0
		.amdhsa_exception_int_div_zero 0
	.end_amdhsa_kernel
	.section	.text._Z16sort_keys_valuesILj256ELj6EfcN10test_utils7greaterEEvPT1_PT2_T3_,"axG",@progbits,_Z16sort_keys_valuesILj256ELj6EfcN10test_utils7greaterEEvPT1_PT2_T3_,comdat
.Lfunc_end23:
	.size	_Z16sort_keys_valuesILj256ELj6EfcN10test_utils7greaterEEvPT1_PT2_T3_, .Lfunc_end23-_Z16sort_keys_valuesILj256ELj6EfcN10test_utils7greaterEEvPT1_PT2_T3_
                                        ; -- End function
	.set _Z16sort_keys_valuesILj256ELj6EfcN10test_utils7greaterEEvPT1_PT2_T3_.num_vgpr, 14
	.set _Z16sort_keys_valuesILj256ELj6EfcN10test_utils7greaterEEvPT1_PT2_T3_.num_agpr, 0
	.set _Z16sort_keys_valuesILj256ELj6EfcN10test_utils7greaterEEvPT1_PT2_T3_.numbered_sgpr, 9
	.set _Z16sort_keys_valuesILj256ELj6EfcN10test_utils7greaterEEvPT1_PT2_T3_.num_named_barrier, 0
	.set _Z16sort_keys_valuesILj256ELj6EfcN10test_utils7greaterEEvPT1_PT2_T3_.private_seg_size, 0
	.set _Z16sort_keys_valuesILj256ELj6EfcN10test_utils7greaterEEvPT1_PT2_T3_.uses_vcc, 1
	.set _Z16sort_keys_valuesILj256ELj6EfcN10test_utils7greaterEEvPT1_PT2_T3_.uses_flat_scratch, 0
	.set _Z16sort_keys_valuesILj256ELj6EfcN10test_utils7greaterEEvPT1_PT2_T3_.has_dyn_sized_stack, 0
	.set _Z16sort_keys_valuesILj256ELj6EfcN10test_utils7greaterEEvPT1_PT2_T3_.has_recursion, 0
	.set _Z16sort_keys_valuesILj256ELj6EfcN10test_utils7greaterEEvPT1_PT2_T3_.has_indirect_call, 0
	.section	.AMDGPU.csdata,"",@progbits
; Kernel info:
; codeLenInByte = 792
; TotalNumSgprs: 13
; NumVgprs: 14
; ScratchSize: 0
; MemoryBound: 0
; FloatMode: 240
; IeeeMode: 1
; LDSByteSize: 0 bytes/workgroup (compile time only)
; SGPRBlocks: 1
; VGPRBlocks: 3
; NumSGPRsForWavesPerEU: 13
; NumVGPRsForWavesPerEU: 14
; Occupancy: 10
; WaveLimiterHint : 0
; COMPUTE_PGM_RSRC2:SCRATCH_EN: 0
; COMPUTE_PGM_RSRC2:USER_SGPR: 6
; COMPUTE_PGM_RSRC2:TRAP_HANDLER: 0
; COMPUTE_PGM_RSRC2:TGID_X_EN: 1
; COMPUTE_PGM_RSRC2:TGID_Y_EN: 0
; COMPUTE_PGM_RSRC2:TGID_Z_EN: 0
; COMPUTE_PGM_RSRC2:TIDIG_COMP_CNT: 0
	.section	.text._Z16sort_keys_valuesILj256ELj5EtcN10test_utils4lessEEvPT1_PT2_T3_,"axG",@progbits,_Z16sort_keys_valuesILj256ELj5EtcN10test_utils4lessEEvPT1_PT2_T3_,comdat
	.protected	_Z16sort_keys_valuesILj256ELj5EtcN10test_utils4lessEEvPT1_PT2_T3_ ; -- Begin function _Z16sort_keys_valuesILj256ELj5EtcN10test_utils4lessEEvPT1_PT2_T3_
	.globl	_Z16sort_keys_valuesILj256ELj5EtcN10test_utils4lessEEvPT1_PT2_T3_
	.p2align	8
	.type	_Z16sort_keys_valuesILj256ELj5EtcN10test_utils4lessEEvPT1_PT2_T3_,@function
_Z16sort_keys_valuesILj256ELj5EtcN10test_utils4lessEEvPT1_PT2_T3_: ; @_Z16sort_keys_valuesILj256ELj5EtcN10test_utils4lessEEvPT1_PT2_T3_
; %bb.0:
	s_load_dwordx4 s[0:3], s[4:5], 0x0
	s_mul_i32 s4, s6, 0x500
	s_mov_b32 s5, 0
	s_lshl_b64 s[6:7], s[4:5], 1
	v_mul_u32_u24_e32 v3, 5, v0
	s_waitcnt lgkmcnt(0)
	s_add_u32 s0, s0, s6
	s_addc_u32 s1, s1, s7
	s_add_u32 s2, s2, s4
	v_lshlrev_b32_e32 v4, 1, v3
	s_addc_u32 s3, s3, 0
	global_load_dwordx2 v[0:1], v4, s[0:1]
	global_load_ushort v2, v4, s[0:1] offset:8
	global_load_ubyte v5, v3, s[2:3] offset:4
	global_load_dword v6, v3, s[2:3]
	v_mov_b32_e32 v7, 0x3020104
	s_mov_b32 s6, 0xc0c0306
	s_mov_b32 s7, 0xc0c0207
	;; [unrolled: 1-line block ×5, first 2 shown]
	s_movk_i32 s5, 0xff
	s_mov_b32 s10, 0x7060302
	s_mov_b32 s11, 0xc0c0001
	;; [unrolled: 1-line block ×4, first 2 shown]
	s_waitcnt vmcnt(3)
	v_cmp_lt_u16_sdwa vcc, v0, v0 src0_sel:WORD_1 src1_sel:DWORD
	s_waitcnt vmcnt(1)
	v_perm_b32 v5, v5, s0, v7
	s_waitcnt vmcnt(0)
	v_lshrrev_b32_e32 v7, 8, v6
	v_lshlrev_b16_e32 v11, 8, v6
	v_lshlrev_b16_e32 v14, 8, v7
	v_perm_b32 v12, v6, v6, s6
	v_perm_b32 v13, v6, v6, s7
	v_or_b32_sdwa v7, v7, v11 dst_sel:DWORD dst_unused:UNUSED_PAD src0_sel:BYTE_0 src1_sel:DWORD
	v_or_b32_sdwa v6, v6, v14 dst_sel:DWORD dst_unused:UNUSED_PAD src0_sel:BYTE_0 src1_sel:DWORD
	v_cndmask_b32_e32 v6, v6, v7, vcc
	v_alignbit_b32 v9, v0, v0, 16
	v_and_b32_e32 v6, 0xffff, v6
	v_bfi_b32 v8, s4, v2, v0
	v_alignbit_b32 v10, v1, v1, 16
	v_cndmask_b32_e32 v0, v0, v9, vcc
	v_lshl_or_b32 v7, v12, 16, v6
	v_lshl_or_b32 v6, v13, 16, v6
	v_cmp_lt_u16_sdwa vcc, v1, v1 src0_sel:WORD_1 src1_sel:DWORD
	v_cndmask_b32_e32 v6, v7, v6, vcc
	v_cndmask_b32_e32 v1, v1, v10, vcc
	v_perm_b32 v7, v6, v6, s8
	v_cmp_lt_u16_sdwa vcc, v1, v0 src0_sel:DWORD src1_sel:WORD_1
	v_perm_b32 v9, v1, v0, s9
	v_cndmask_b32_e32 v6, v6, v7, vcc
	v_lshlrev_b16_e32 v11, 8, v5
	v_perm_b32 v10, v1, v0, s10
	v_cndmask_b32_e32 v0, v0, v9, vcc
	v_and_b32_sdwa v9, v6, s5 dst_sel:DWORD dst_unused:UNUSED_PAD src0_sel:WORD_1 src1_sel:DWORD
	v_cndmask_b32_e32 v1, v1, v10, vcc
	v_or_b32_sdwa v9, v9, v11 dst_sel:WORD_1 dst_unused:UNUSED_PAD src0_sel:DWORD src1_sel:DWORD
	v_and_or_b32 v9, v6, s4, v9
	v_cmp_lt_u16_sdwa vcc, v2, v1 src0_sel:DWORD src1_sel:WORD_1
	v_lshrrev_b32_e32 v7, 24, v6
	v_perm_b32 v12, v2, v1, s9
	v_cndmask_b32_e32 v2, v6, v9, vcc
	v_alignbit_b32 v10, s0, v1, 16
	v_cndmask_b32_e32 v5, v5, v7, vcc
	v_perm_b32 v7, 0, v2, s11
	v_cndmask_b32_e32 v1, v1, v12, vcc
	v_cndmask_b32_e32 v6, v8, v10, vcc
	v_and_or_b32 v7, v2, s12, v7
	v_cmp_lt_u16_sdwa vcc, v0, v0 src0_sel:WORD_1 src1_sel:DWORD
	v_alignbit_b32 v13, v0, v0, 16
	v_cndmask_b32_e32 v2, v2, v7, vcc
	v_cndmask_b32_e32 v7, v0, v13, vcc
	v_lshrrev_b32_e32 v0, 16, v2
	v_perm_b32 v0, 0, v0, s11
	v_lshlrev_b32_e32 v0, 16, v0
	v_alignbit_b32 v8, v1, v1, 16
	v_and_or_b32 v0, v2, s4, v0
	v_cmp_lt_u16_sdwa vcc, v1, v1 src0_sel:WORD_1 src1_sel:DWORD
	v_cndmask_b32_e32 v0, v2, v0, vcc
	v_cndmask_b32_e32 v1, v1, v8, vcc
	v_perm_b32 v2, v0, v0, s8
	v_cmp_lt_u16_sdwa vcc, v1, v7 src0_sel:DWORD src1_sel:WORD_1
	v_perm_b32 v10, v1, v7, s9
	v_cndmask_b32_e32 v0, v0, v2, vcc
	v_lshlrev_b16_e32 v9, 8, v5
	v_perm_b32 v8, v1, v7, s10
	v_cndmask_b32_e32 v7, v7, v10, vcc
	v_and_b32_sdwa v10, v0, s5 dst_sel:DWORD dst_unused:UNUSED_PAD src0_sel:WORD_1 src1_sel:DWORD
	v_cndmask_b32_e32 v8, v1, v8, vcc
	v_or_b32_sdwa v9, v10, v9 dst_sel:WORD_1 dst_unused:UNUSED_PAD src0_sel:DWORD src1_sel:DWORD
	v_lshlrev_b64 v[1:2], 8, v[0:1]
	v_and_or_b32 v9, v0, s4, v9
	v_cmp_lt_u16_sdwa vcc, v6, v8 src0_sel:DWORD src1_sel:WORD_1
	v_alignbit_b32 v11, s0, v8, 16
	v_perm_b32 v12, v6, v8, s9
	v_cndmask_b32_e32 v0, v0, v9, vcc
	v_cndmask_b32_e32 v2, v5, v2, vcc
	;; [unrolled: 1-line block ×4, first 2 shown]
	v_perm_b32 v8, 0, v0, s11
	global_store_short v4, v6, s[0:1] offset:8
	v_and_or_b32 v6, v0, s12, v8
	v_cmp_lt_u16_sdwa vcc, v7, v7 src0_sel:WORD_1 src1_sel:DWORD
	v_alignbit_b32 v1, v7, v7, 16
	v_cndmask_b32_e32 v6, v0, v6, vcc
	v_cndmask_b32_e32 v0, v7, v1, vcc
	v_lshrrev_b32_e32 v1, 16, v6
	v_perm_b32 v1, 0, v1, s11
	v_lshlrev_b32_e32 v1, 16, v1
	v_alignbit_b32 v9, v5, v5, 16
	v_and_or_b32 v1, v6, s4, v1
	v_cmp_lt_u16_sdwa vcc, v5, v5 src0_sel:WORD_1 src1_sel:DWORD
	v_cndmask_b32_e32 v6, v6, v1, vcc
	v_cndmask_b32_e32 v1, v5, v9, vcc
	global_store_dwordx2 v4, v[0:1], s[0:1]
	v_lshrrev_b32_e32 v0, 16, v6
	v_perm_b32 v0, v6, v0, s13
	global_store_byte v3, v2, s[2:3] offset:4
	global_store_dword v3, v0, s[2:3]
	s_endpgm
	.section	.rodata,"a",@progbits
	.p2align	6, 0x0
	.amdhsa_kernel _Z16sort_keys_valuesILj256ELj5EtcN10test_utils4lessEEvPT1_PT2_T3_
		.amdhsa_group_segment_fixed_size 0
		.amdhsa_private_segment_fixed_size 0
		.amdhsa_kernarg_size 20
		.amdhsa_user_sgpr_count 6
		.amdhsa_user_sgpr_private_segment_buffer 1
		.amdhsa_user_sgpr_dispatch_ptr 0
		.amdhsa_user_sgpr_queue_ptr 0
		.amdhsa_user_sgpr_kernarg_segment_ptr 1
		.amdhsa_user_sgpr_dispatch_id 0
		.amdhsa_user_sgpr_flat_scratch_init 0
		.amdhsa_user_sgpr_private_segment_size 0
		.amdhsa_uses_dynamic_stack 0
		.amdhsa_system_sgpr_private_segment_wavefront_offset 0
		.amdhsa_system_sgpr_workgroup_id_x 1
		.amdhsa_system_sgpr_workgroup_id_y 0
		.amdhsa_system_sgpr_workgroup_id_z 0
		.amdhsa_system_sgpr_workgroup_info 0
		.amdhsa_system_vgpr_workitem_id 0
		.amdhsa_next_free_vgpr 15
		.amdhsa_next_free_sgpr 14
		.amdhsa_reserve_vcc 1
		.amdhsa_reserve_flat_scratch 0
		.amdhsa_float_round_mode_32 0
		.amdhsa_float_round_mode_16_64 0
		.amdhsa_float_denorm_mode_32 3
		.amdhsa_float_denorm_mode_16_64 3
		.amdhsa_dx10_clamp 1
		.amdhsa_ieee_mode 1
		.amdhsa_fp16_overflow 0
		.amdhsa_exception_fp_ieee_invalid_op 0
		.amdhsa_exception_fp_denorm_src 0
		.amdhsa_exception_fp_ieee_div_zero 0
		.amdhsa_exception_fp_ieee_overflow 0
		.amdhsa_exception_fp_ieee_underflow 0
		.amdhsa_exception_fp_ieee_inexact 0
		.amdhsa_exception_int_div_zero 0
	.end_amdhsa_kernel
	.section	.text._Z16sort_keys_valuesILj256ELj5EtcN10test_utils4lessEEvPT1_PT2_T3_,"axG",@progbits,_Z16sort_keys_valuesILj256ELj5EtcN10test_utils4lessEEvPT1_PT2_T3_,comdat
.Lfunc_end24:
	.size	_Z16sort_keys_valuesILj256ELj5EtcN10test_utils4lessEEvPT1_PT2_T3_, .Lfunc_end24-_Z16sort_keys_valuesILj256ELj5EtcN10test_utils4lessEEvPT1_PT2_T3_
                                        ; -- End function
	.set _Z16sort_keys_valuesILj256ELj5EtcN10test_utils4lessEEvPT1_PT2_T3_.num_vgpr, 15
	.set _Z16sort_keys_valuesILj256ELj5EtcN10test_utils4lessEEvPT1_PT2_T3_.num_agpr, 0
	.set _Z16sort_keys_valuesILj256ELj5EtcN10test_utils4lessEEvPT1_PT2_T3_.numbered_sgpr, 14
	.set _Z16sort_keys_valuesILj256ELj5EtcN10test_utils4lessEEvPT1_PT2_T3_.num_named_barrier, 0
	.set _Z16sort_keys_valuesILj256ELj5EtcN10test_utils4lessEEvPT1_PT2_T3_.private_seg_size, 0
	.set _Z16sort_keys_valuesILj256ELj5EtcN10test_utils4lessEEvPT1_PT2_T3_.uses_vcc, 1
	.set _Z16sort_keys_valuesILj256ELj5EtcN10test_utils4lessEEvPT1_PT2_T3_.uses_flat_scratch, 0
	.set _Z16sort_keys_valuesILj256ELj5EtcN10test_utils4lessEEvPT1_PT2_T3_.has_dyn_sized_stack, 0
	.set _Z16sort_keys_valuesILj256ELj5EtcN10test_utils4lessEEvPT1_PT2_T3_.has_recursion, 0
	.set _Z16sort_keys_valuesILj256ELj5EtcN10test_utils4lessEEvPT1_PT2_T3_.has_indirect_call, 0
	.section	.AMDGPU.csdata,"",@progbits
; Kernel info:
; codeLenInByte = 772
; TotalNumSgprs: 18
; NumVgprs: 15
; ScratchSize: 0
; MemoryBound: 0
; FloatMode: 240
; IeeeMode: 1
; LDSByteSize: 0 bytes/workgroup (compile time only)
; SGPRBlocks: 2
; VGPRBlocks: 3
; NumSGPRsForWavesPerEU: 18
; NumVGPRsForWavesPerEU: 15
; Occupancy: 10
; WaveLimiterHint : 0
; COMPUTE_PGM_RSRC2:SCRATCH_EN: 0
; COMPUTE_PGM_RSRC2:USER_SGPR: 6
; COMPUTE_PGM_RSRC2:TRAP_HANDLER: 0
; COMPUTE_PGM_RSRC2:TGID_X_EN: 1
; COMPUTE_PGM_RSRC2:TGID_Y_EN: 0
; COMPUTE_PGM_RSRC2:TGID_Z_EN: 0
; COMPUTE_PGM_RSRC2:TIDIG_COMP_CNT: 0
	.section	.text._Z16sort_keys_valuesILj256ELj4EjiN10test_utils4lessEEvPT1_PT2_T3_,"axG",@progbits,_Z16sort_keys_valuesILj256ELj4EjiN10test_utils4lessEEvPT1_PT2_T3_,comdat
	.protected	_Z16sort_keys_valuesILj256ELj4EjiN10test_utils4lessEEvPT1_PT2_T3_ ; -- Begin function _Z16sort_keys_valuesILj256ELj4EjiN10test_utils4lessEEvPT1_PT2_T3_
	.globl	_Z16sort_keys_valuesILj256ELj4EjiN10test_utils4lessEEvPT1_PT2_T3_
	.p2align	8
	.type	_Z16sort_keys_valuesILj256ELj4EjiN10test_utils4lessEEvPT1_PT2_T3_,@function
_Z16sort_keys_valuesILj256ELj4EjiN10test_utils4lessEEvPT1_PT2_T3_: ; @_Z16sort_keys_valuesILj256ELj4EjiN10test_utils4lessEEvPT1_PT2_T3_
; %bb.0:
	s_load_dwordx4 s[0:3], s[4:5], 0x0
	s_lshl_b32 s4, s6, 10
	s_mov_b32 s5, 0
	s_lshl_b64 s[4:5], s[4:5], 2
	v_lshlrev_b32_e32 v8, 4, v0
	s_waitcnt lgkmcnt(0)
	s_add_u32 s0, s0, s4
	s_addc_u32 s1, s1, s5
	s_add_u32 s2, s2, s4
	global_load_dwordx4 v[0:3], v8, s[0:1]
	s_addc_u32 s3, s3, s5
	global_load_dwordx4 v[4:7], v8, s[2:3]
	s_waitcnt vmcnt(1)
	v_cmp_lt_u32_e32 vcc, v1, v0
	v_min_u32_e32 v9, v3, v2
	s_waitcnt vmcnt(0)
	v_cndmask_b32_e32 v10, v4, v5, vcc
	v_cndmask_b32_e32 v4, v5, v4, vcc
	;; [unrolled: 1-line block ×4, first 2 shown]
	v_cmp_lt_u32_e32 vcc, v3, v2
	v_cndmask_b32_e32 v1, v7, v6, vcc
	v_cndmask_b32_e32 v6, v6, v7, vcc
	;; [unrolled: 1-line block ×4, first 2 shown]
	v_cmp_lt_u32_e32 vcc, v9, v0
	v_min_u32_e32 v3, v9, v0
	v_cndmask_b32_e32 v7, v6, v4, vcc
	v_cndmask_b32_e32 v4, v4, v6, vcc
	;; [unrolled: 1-line block ×4, first 2 shown]
	v_cmp_lt_u32_e32 vcc, v3, v5
	v_cndmask_b32_e32 v0, v10, v4, vcc
	v_cndmask_b32_e32 v9, v4, v10, vcc
	;; [unrolled: 1-line block ×4, first 2 shown]
	v_cmp_lt_u32_e32 vcc, v11, v2
	v_min_u32_e32 v10, v11, v2
	v_cndmask_b32_e32 v3, v1, v7, vcc
	v_cndmask_b32_e32 v1, v7, v1, vcc
	;; [unrolled: 1-line block ×4, first 2 shown]
	v_cmp_lt_u32_e32 vcc, v10, v5
	v_cndmask_b32_e32 v6, v6, v5, vcc
	v_cndmask_b32_e32 v5, v5, v10, vcc
	;; [unrolled: 1-line block ×4, first 2 shown]
	global_store_dwordx4 v8, v[4:7], s[0:1]
	global_store_dwordx4 v8, v[0:3], s[2:3]
	s_endpgm
	.section	.rodata,"a",@progbits
	.p2align	6, 0x0
	.amdhsa_kernel _Z16sort_keys_valuesILj256ELj4EjiN10test_utils4lessEEvPT1_PT2_T3_
		.amdhsa_group_segment_fixed_size 0
		.amdhsa_private_segment_fixed_size 0
		.amdhsa_kernarg_size 20
		.amdhsa_user_sgpr_count 6
		.amdhsa_user_sgpr_private_segment_buffer 1
		.amdhsa_user_sgpr_dispatch_ptr 0
		.amdhsa_user_sgpr_queue_ptr 0
		.amdhsa_user_sgpr_kernarg_segment_ptr 1
		.amdhsa_user_sgpr_dispatch_id 0
		.amdhsa_user_sgpr_flat_scratch_init 0
		.amdhsa_user_sgpr_private_segment_size 0
		.amdhsa_uses_dynamic_stack 0
		.amdhsa_system_sgpr_private_segment_wavefront_offset 0
		.amdhsa_system_sgpr_workgroup_id_x 1
		.amdhsa_system_sgpr_workgroup_id_y 0
		.amdhsa_system_sgpr_workgroup_id_z 0
		.amdhsa_system_sgpr_workgroup_info 0
		.amdhsa_system_vgpr_workitem_id 0
		.amdhsa_next_free_vgpr 12
		.amdhsa_next_free_sgpr 7
		.amdhsa_reserve_vcc 1
		.amdhsa_reserve_flat_scratch 0
		.amdhsa_float_round_mode_32 0
		.amdhsa_float_round_mode_16_64 0
		.amdhsa_float_denorm_mode_32 3
		.amdhsa_float_denorm_mode_16_64 3
		.amdhsa_dx10_clamp 1
		.amdhsa_ieee_mode 1
		.amdhsa_fp16_overflow 0
		.amdhsa_exception_fp_ieee_invalid_op 0
		.amdhsa_exception_fp_denorm_src 0
		.amdhsa_exception_fp_ieee_div_zero 0
		.amdhsa_exception_fp_ieee_overflow 0
		.amdhsa_exception_fp_ieee_underflow 0
		.amdhsa_exception_fp_ieee_inexact 0
		.amdhsa_exception_int_div_zero 0
	.end_amdhsa_kernel
	.section	.text._Z16sort_keys_valuesILj256ELj4EjiN10test_utils4lessEEvPT1_PT2_T3_,"axG",@progbits,_Z16sort_keys_valuesILj256ELj4EjiN10test_utils4lessEEvPT1_PT2_T3_,comdat
.Lfunc_end25:
	.size	_Z16sort_keys_valuesILj256ELj4EjiN10test_utils4lessEEvPT1_PT2_T3_, .Lfunc_end25-_Z16sort_keys_valuesILj256ELj4EjiN10test_utils4lessEEvPT1_PT2_T3_
                                        ; -- End function
	.set _Z16sort_keys_valuesILj256ELj4EjiN10test_utils4lessEEvPT1_PT2_T3_.num_vgpr, 12
	.set _Z16sort_keys_valuesILj256ELj4EjiN10test_utils4lessEEvPT1_PT2_T3_.num_agpr, 0
	.set _Z16sort_keys_valuesILj256ELj4EjiN10test_utils4lessEEvPT1_PT2_T3_.numbered_sgpr, 7
	.set _Z16sort_keys_valuesILj256ELj4EjiN10test_utils4lessEEvPT1_PT2_T3_.num_named_barrier, 0
	.set _Z16sort_keys_valuesILj256ELj4EjiN10test_utils4lessEEvPT1_PT2_T3_.private_seg_size, 0
	.set _Z16sort_keys_valuesILj256ELj4EjiN10test_utils4lessEEvPT1_PT2_T3_.uses_vcc, 1
	.set _Z16sort_keys_valuesILj256ELj4EjiN10test_utils4lessEEvPT1_PT2_T3_.uses_flat_scratch, 0
	.set _Z16sort_keys_valuesILj256ELj4EjiN10test_utils4lessEEvPT1_PT2_T3_.has_dyn_sized_stack, 0
	.set _Z16sort_keys_valuesILj256ELj4EjiN10test_utils4lessEEvPT1_PT2_T3_.has_recursion, 0
	.set _Z16sort_keys_valuesILj256ELj4EjiN10test_utils4lessEEvPT1_PT2_T3_.has_indirect_call, 0
	.section	.AMDGPU.csdata,"",@progbits
; Kernel info:
; codeLenInByte = 220
; TotalNumSgprs: 11
; NumVgprs: 12
; ScratchSize: 0
; MemoryBound: 0
; FloatMode: 240
; IeeeMode: 1
; LDSByteSize: 0 bytes/workgroup (compile time only)
; SGPRBlocks: 1
; VGPRBlocks: 2
; NumSGPRsForWavesPerEU: 11
; NumVGPRsForWavesPerEU: 12
; Occupancy: 10
; WaveLimiterHint : 0
; COMPUTE_PGM_RSRC2:SCRATCH_EN: 0
; COMPUTE_PGM_RSRC2:USER_SGPR: 6
; COMPUTE_PGM_RSRC2:TRAP_HANDLER: 0
; COMPUTE_PGM_RSRC2:TGID_X_EN: 1
; COMPUTE_PGM_RSRC2:TGID_Y_EN: 0
; COMPUTE_PGM_RSRC2:TGID_Z_EN: 0
; COMPUTE_PGM_RSRC2:TIDIG_COMP_CNT: 0
	.section	.text._Z16sort_keys_valuesILj256ELj3EiiN10test_utils4lessEEvPT1_PT2_T3_,"axG",@progbits,_Z16sort_keys_valuesILj256ELj3EiiN10test_utils4lessEEvPT1_PT2_T3_,comdat
	.protected	_Z16sort_keys_valuesILj256ELj3EiiN10test_utils4lessEEvPT1_PT2_T3_ ; -- Begin function _Z16sort_keys_valuesILj256ELj3EiiN10test_utils4lessEEvPT1_PT2_T3_
	.globl	_Z16sort_keys_valuesILj256ELj3EiiN10test_utils4lessEEvPT1_PT2_T3_
	.p2align	8
	.type	_Z16sort_keys_valuesILj256ELj3EiiN10test_utils4lessEEvPT1_PT2_T3_,@function
_Z16sort_keys_valuesILj256ELj3EiiN10test_utils4lessEEvPT1_PT2_T3_: ; @_Z16sort_keys_valuesILj256ELj3EiiN10test_utils4lessEEvPT1_PT2_T3_
; %bb.0:
	s_load_dwordx4 s[0:3], s[4:5], 0x0
	s_mul_i32 s4, s6, 0x300
	s_mov_b32 s5, 0
	s_lshl_b64 s[4:5], s[4:5], 2
	v_mul_u32_u24_e32 v0, 3, v0
	s_waitcnt lgkmcnt(0)
	s_add_u32 s0, s0, s4
	s_addc_u32 s1, s1, s5
	v_lshlrev_b32_e32 v7, 2, v0
	s_add_u32 s2, s2, s4
	global_load_dwordx3 v[0:2], v7, s[0:1]
	s_addc_u32 s3, s3, s5
	global_load_dwordx3 v[3:5], v7, s[2:3]
	s_waitcnt vmcnt(1)
	v_max_i32_e32 v6, v1, v0
	v_cmp_lt_i32_e32 vcc, v1, v0
	v_min_i32_e32 v8, v2, v6
	s_waitcnt vmcnt(0)
	v_cndmask_b32_e32 v9, v3, v4, vcc
	v_cndmask_b32_e32 v4, v4, v3, vcc
	;; [unrolled: 1-line block ×4, first 2 shown]
	v_cmp_lt_i32_e32 vcc, v2, v6
	v_cndmask_b32_e32 v3, v5, v4, vcc
	v_cndmask_b32_e32 v1, v4, v5, vcc
	v_cndmask_b32_e32 v6, v2, v6, vcc
	v_cndmask_b32_e32 v0, v0, v2, vcc
	v_cmp_lt_i32_e32 vcc, v8, v10
	v_cndmask_b32_e32 v5, v0, v10, vcc
	v_cndmask_b32_e32 v4, v10, v8, vcc
	;; [unrolled: 1-line block ×4, first 2 shown]
	global_store_dwordx3 v7, v[4:6], s[0:1]
	global_store_dwordx3 v7, v[1:3], s[2:3]
	s_endpgm
	.section	.rodata,"a",@progbits
	.p2align	6, 0x0
	.amdhsa_kernel _Z16sort_keys_valuesILj256ELj3EiiN10test_utils4lessEEvPT1_PT2_T3_
		.amdhsa_group_segment_fixed_size 0
		.amdhsa_private_segment_fixed_size 0
		.amdhsa_kernarg_size 20
		.amdhsa_user_sgpr_count 6
		.amdhsa_user_sgpr_private_segment_buffer 1
		.amdhsa_user_sgpr_dispatch_ptr 0
		.amdhsa_user_sgpr_queue_ptr 0
		.amdhsa_user_sgpr_kernarg_segment_ptr 1
		.amdhsa_user_sgpr_dispatch_id 0
		.amdhsa_user_sgpr_flat_scratch_init 0
		.amdhsa_user_sgpr_private_segment_size 0
		.amdhsa_uses_dynamic_stack 0
		.amdhsa_system_sgpr_private_segment_wavefront_offset 0
		.amdhsa_system_sgpr_workgroup_id_x 1
		.amdhsa_system_sgpr_workgroup_id_y 0
		.amdhsa_system_sgpr_workgroup_id_z 0
		.amdhsa_system_sgpr_workgroup_info 0
		.amdhsa_system_vgpr_workitem_id 0
		.amdhsa_next_free_vgpr 11
		.amdhsa_next_free_sgpr 7
		.amdhsa_reserve_vcc 1
		.amdhsa_reserve_flat_scratch 0
		.amdhsa_float_round_mode_32 0
		.amdhsa_float_round_mode_16_64 0
		.amdhsa_float_denorm_mode_32 3
		.amdhsa_float_denorm_mode_16_64 3
		.amdhsa_dx10_clamp 1
		.amdhsa_ieee_mode 1
		.amdhsa_fp16_overflow 0
		.amdhsa_exception_fp_ieee_invalid_op 0
		.amdhsa_exception_fp_denorm_src 0
		.amdhsa_exception_fp_ieee_div_zero 0
		.amdhsa_exception_fp_ieee_overflow 0
		.amdhsa_exception_fp_ieee_underflow 0
		.amdhsa_exception_fp_ieee_inexact 0
		.amdhsa_exception_int_div_zero 0
	.end_amdhsa_kernel
	.section	.text._Z16sort_keys_valuesILj256ELj3EiiN10test_utils4lessEEvPT1_PT2_T3_,"axG",@progbits,_Z16sort_keys_valuesILj256ELj3EiiN10test_utils4lessEEvPT1_PT2_T3_,comdat
.Lfunc_end26:
	.size	_Z16sort_keys_valuesILj256ELj3EiiN10test_utils4lessEEvPT1_PT2_T3_, .Lfunc_end26-_Z16sort_keys_valuesILj256ELj3EiiN10test_utils4lessEEvPT1_PT2_T3_
                                        ; -- End function
	.set _Z16sort_keys_valuesILj256ELj3EiiN10test_utils4lessEEvPT1_PT2_T3_.num_vgpr, 11
	.set _Z16sort_keys_valuesILj256ELj3EiiN10test_utils4lessEEvPT1_PT2_T3_.num_agpr, 0
	.set _Z16sort_keys_valuesILj256ELj3EiiN10test_utils4lessEEvPT1_PT2_T3_.numbered_sgpr, 7
	.set _Z16sort_keys_valuesILj256ELj3EiiN10test_utils4lessEEvPT1_PT2_T3_.num_named_barrier, 0
	.set _Z16sort_keys_valuesILj256ELj3EiiN10test_utils4lessEEvPT1_PT2_T3_.private_seg_size, 0
	.set _Z16sort_keys_valuesILj256ELj3EiiN10test_utils4lessEEvPT1_PT2_T3_.uses_vcc, 1
	.set _Z16sort_keys_valuesILj256ELj3EiiN10test_utils4lessEEvPT1_PT2_T3_.uses_flat_scratch, 0
	.set _Z16sort_keys_valuesILj256ELj3EiiN10test_utils4lessEEvPT1_PT2_T3_.has_dyn_sized_stack, 0
	.set _Z16sort_keys_valuesILj256ELj3EiiN10test_utils4lessEEvPT1_PT2_T3_.has_recursion, 0
	.set _Z16sort_keys_valuesILj256ELj3EiiN10test_utils4lessEEvPT1_PT2_T3_.has_indirect_call, 0
	.section	.AMDGPU.csdata,"",@progbits
; Kernel info:
; codeLenInByte = 164
; TotalNumSgprs: 11
; NumVgprs: 11
; ScratchSize: 0
; MemoryBound: 0
; FloatMode: 240
; IeeeMode: 1
; LDSByteSize: 0 bytes/workgroup (compile time only)
; SGPRBlocks: 1
; VGPRBlocks: 2
; NumSGPRsForWavesPerEU: 11
; NumVGPRsForWavesPerEU: 11
; Occupancy: 10
; WaveLimiterHint : 0
; COMPUTE_PGM_RSRC2:SCRATCH_EN: 0
; COMPUTE_PGM_RSRC2:USER_SGPR: 6
; COMPUTE_PGM_RSRC2:TRAP_HANDLER: 0
; COMPUTE_PGM_RSRC2:TGID_X_EN: 1
; COMPUTE_PGM_RSRC2:TGID_Y_EN: 0
; COMPUTE_PGM_RSRC2:TGID_Z_EN: 0
; COMPUTE_PGM_RSRC2:TIDIG_COMP_CNT: 0
	.section	.text._Z16sort_keys_valuesILj256ELj2EjiN10test_utils4lessEEvPT1_PT2_T3_,"axG",@progbits,_Z16sort_keys_valuesILj256ELj2EjiN10test_utils4lessEEvPT1_PT2_T3_,comdat
	.protected	_Z16sort_keys_valuesILj256ELj2EjiN10test_utils4lessEEvPT1_PT2_T3_ ; -- Begin function _Z16sort_keys_valuesILj256ELj2EjiN10test_utils4lessEEvPT1_PT2_T3_
	.globl	_Z16sort_keys_valuesILj256ELj2EjiN10test_utils4lessEEvPT1_PT2_T3_
	.p2align	8
	.type	_Z16sort_keys_valuesILj256ELj2EjiN10test_utils4lessEEvPT1_PT2_T3_,@function
_Z16sort_keys_valuesILj256ELj2EjiN10test_utils4lessEEvPT1_PT2_T3_: ; @_Z16sort_keys_valuesILj256ELj2EjiN10test_utils4lessEEvPT1_PT2_T3_
; %bb.0:
	s_load_dwordx4 s[0:3], s[4:5], 0x0
	s_lshl_b32 s4, s6, 9
	s_mov_b32 s5, 0
	s_lshl_b64 s[4:5], s[4:5], 2
	v_lshlrev_b32_e32 v5, 3, v0
	s_waitcnt lgkmcnt(0)
	s_add_u32 s0, s0, s4
	s_addc_u32 s1, s1, s5
	s_add_u32 s2, s2, s4
	s_addc_u32 s3, s3, s5
	global_load_dwordx2 v[0:1], v5, s[0:1]
	global_load_dwordx2 v[2:3], v5, s[2:3]
	s_waitcnt vmcnt(1)
	v_cmp_lt_u32_e32 vcc, v1, v0
	s_waitcnt vmcnt(0)
	v_cndmask_b32_e32 v4, v3, v2, vcc
	v_cndmask_b32_e32 v3, v2, v3, vcc
	;; [unrolled: 1-line block ×4, first 2 shown]
	global_store_dwordx2 v5, v[1:2], s[0:1]
	global_store_dwordx2 v5, v[3:4], s[2:3]
	s_endpgm
	.section	.rodata,"a",@progbits
	.p2align	6, 0x0
	.amdhsa_kernel _Z16sort_keys_valuesILj256ELj2EjiN10test_utils4lessEEvPT1_PT2_T3_
		.amdhsa_group_segment_fixed_size 0
		.amdhsa_private_segment_fixed_size 0
		.amdhsa_kernarg_size 20
		.amdhsa_user_sgpr_count 6
		.amdhsa_user_sgpr_private_segment_buffer 1
		.amdhsa_user_sgpr_dispatch_ptr 0
		.amdhsa_user_sgpr_queue_ptr 0
		.amdhsa_user_sgpr_kernarg_segment_ptr 1
		.amdhsa_user_sgpr_dispatch_id 0
		.amdhsa_user_sgpr_flat_scratch_init 0
		.amdhsa_user_sgpr_private_segment_size 0
		.amdhsa_uses_dynamic_stack 0
		.amdhsa_system_sgpr_private_segment_wavefront_offset 0
		.amdhsa_system_sgpr_workgroup_id_x 1
		.amdhsa_system_sgpr_workgroup_id_y 0
		.amdhsa_system_sgpr_workgroup_id_z 0
		.amdhsa_system_sgpr_workgroup_info 0
		.amdhsa_system_vgpr_workitem_id 0
		.amdhsa_next_free_vgpr 6
		.amdhsa_next_free_sgpr 7
		.amdhsa_reserve_vcc 1
		.amdhsa_reserve_flat_scratch 0
		.amdhsa_float_round_mode_32 0
		.amdhsa_float_round_mode_16_64 0
		.amdhsa_float_denorm_mode_32 3
		.amdhsa_float_denorm_mode_16_64 3
		.amdhsa_dx10_clamp 1
		.amdhsa_ieee_mode 1
		.amdhsa_fp16_overflow 0
		.amdhsa_exception_fp_ieee_invalid_op 0
		.amdhsa_exception_fp_denorm_src 0
		.amdhsa_exception_fp_ieee_div_zero 0
		.amdhsa_exception_fp_ieee_overflow 0
		.amdhsa_exception_fp_ieee_underflow 0
		.amdhsa_exception_fp_ieee_inexact 0
		.amdhsa_exception_int_div_zero 0
	.end_amdhsa_kernel
	.section	.text._Z16sort_keys_valuesILj256ELj2EjiN10test_utils4lessEEvPT1_PT2_T3_,"axG",@progbits,_Z16sort_keys_valuesILj256ELj2EjiN10test_utils4lessEEvPT1_PT2_T3_,comdat
.Lfunc_end27:
	.size	_Z16sort_keys_valuesILj256ELj2EjiN10test_utils4lessEEvPT1_PT2_T3_, .Lfunc_end27-_Z16sort_keys_valuesILj256ELj2EjiN10test_utils4lessEEvPT1_PT2_T3_
                                        ; -- End function
	.set _Z16sort_keys_valuesILj256ELj2EjiN10test_utils4lessEEvPT1_PT2_T3_.num_vgpr, 6
	.set _Z16sort_keys_valuesILj256ELj2EjiN10test_utils4lessEEvPT1_PT2_T3_.num_agpr, 0
	.set _Z16sort_keys_valuesILj256ELj2EjiN10test_utils4lessEEvPT1_PT2_T3_.numbered_sgpr, 7
	.set _Z16sort_keys_valuesILj256ELj2EjiN10test_utils4lessEEvPT1_PT2_T3_.num_named_barrier, 0
	.set _Z16sort_keys_valuesILj256ELj2EjiN10test_utils4lessEEvPT1_PT2_T3_.private_seg_size, 0
	.set _Z16sort_keys_valuesILj256ELj2EjiN10test_utils4lessEEvPT1_PT2_T3_.uses_vcc, 1
	.set _Z16sort_keys_valuesILj256ELj2EjiN10test_utils4lessEEvPT1_PT2_T3_.uses_flat_scratch, 0
	.set _Z16sort_keys_valuesILj256ELj2EjiN10test_utils4lessEEvPT1_PT2_T3_.has_dyn_sized_stack, 0
	.set _Z16sort_keys_valuesILj256ELj2EjiN10test_utils4lessEEvPT1_PT2_T3_.has_recursion, 0
	.set _Z16sort_keys_valuesILj256ELj2EjiN10test_utils4lessEEvPT1_PT2_T3_.has_indirect_call, 0
	.section	.AMDGPU.csdata,"",@progbits
; Kernel info:
; codeLenInByte = 108
; TotalNumSgprs: 11
; NumVgprs: 6
; ScratchSize: 0
; MemoryBound: 0
; FloatMode: 240
; IeeeMode: 1
; LDSByteSize: 0 bytes/workgroup (compile time only)
; SGPRBlocks: 1
; VGPRBlocks: 1
; NumSGPRsForWavesPerEU: 11
; NumVGPRsForWavesPerEU: 6
; Occupancy: 10
; WaveLimiterHint : 0
; COMPUTE_PGM_RSRC2:SCRATCH_EN: 0
; COMPUTE_PGM_RSRC2:USER_SGPR: 6
; COMPUTE_PGM_RSRC2:TRAP_HANDLER: 0
; COMPUTE_PGM_RSRC2:TGID_X_EN: 1
; COMPUTE_PGM_RSRC2:TGID_Y_EN: 0
; COMPUTE_PGM_RSRC2:TGID_Z_EN: 0
; COMPUTE_PGM_RSRC2:TIDIG_COMP_CNT: 0
	.section	.text._Z16sort_keys_valuesILj256ELj1EiiN10test_utils4lessEEvPT1_PT2_T3_,"axG",@progbits,_Z16sort_keys_valuesILj256ELj1EiiN10test_utils4lessEEvPT1_PT2_T3_,comdat
	.protected	_Z16sort_keys_valuesILj256ELj1EiiN10test_utils4lessEEvPT1_PT2_T3_ ; -- Begin function _Z16sort_keys_valuesILj256ELj1EiiN10test_utils4lessEEvPT1_PT2_T3_
	.globl	_Z16sort_keys_valuesILj256ELj1EiiN10test_utils4lessEEvPT1_PT2_T3_
	.p2align	8
	.type	_Z16sort_keys_valuesILj256ELj1EiiN10test_utils4lessEEvPT1_PT2_T3_,@function
_Z16sort_keys_valuesILj256ELj1EiiN10test_utils4lessEEvPT1_PT2_T3_: ; @_Z16sort_keys_valuesILj256ELj1EiiN10test_utils4lessEEvPT1_PT2_T3_
; %bb.0:
	s_endpgm
	.section	.rodata,"a",@progbits
	.p2align	6, 0x0
	.amdhsa_kernel _Z16sort_keys_valuesILj256ELj1EiiN10test_utils4lessEEvPT1_PT2_T3_
		.amdhsa_group_segment_fixed_size 0
		.amdhsa_private_segment_fixed_size 0
		.amdhsa_kernarg_size 20
		.amdhsa_user_sgpr_count 6
		.amdhsa_user_sgpr_private_segment_buffer 1
		.amdhsa_user_sgpr_dispatch_ptr 0
		.amdhsa_user_sgpr_queue_ptr 0
		.amdhsa_user_sgpr_kernarg_segment_ptr 1
		.amdhsa_user_sgpr_dispatch_id 0
		.amdhsa_user_sgpr_flat_scratch_init 0
		.amdhsa_user_sgpr_private_segment_size 0
		.amdhsa_uses_dynamic_stack 0
		.amdhsa_system_sgpr_private_segment_wavefront_offset 0
		.amdhsa_system_sgpr_workgroup_id_x 1
		.amdhsa_system_sgpr_workgroup_id_y 0
		.amdhsa_system_sgpr_workgroup_id_z 0
		.amdhsa_system_sgpr_workgroup_info 0
		.amdhsa_system_vgpr_workitem_id 0
		.amdhsa_next_free_vgpr 1
		.amdhsa_next_free_sgpr 0
		.amdhsa_reserve_vcc 0
		.amdhsa_reserve_flat_scratch 0
		.amdhsa_float_round_mode_32 0
		.amdhsa_float_round_mode_16_64 0
		.amdhsa_float_denorm_mode_32 3
		.amdhsa_float_denorm_mode_16_64 3
		.amdhsa_dx10_clamp 1
		.amdhsa_ieee_mode 1
		.amdhsa_fp16_overflow 0
		.amdhsa_exception_fp_ieee_invalid_op 0
		.amdhsa_exception_fp_denorm_src 0
		.amdhsa_exception_fp_ieee_div_zero 0
		.amdhsa_exception_fp_ieee_overflow 0
		.amdhsa_exception_fp_ieee_underflow 0
		.amdhsa_exception_fp_ieee_inexact 0
		.amdhsa_exception_int_div_zero 0
	.end_amdhsa_kernel
	.section	.text._Z16sort_keys_valuesILj256ELj1EiiN10test_utils4lessEEvPT1_PT2_T3_,"axG",@progbits,_Z16sort_keys_valuesILj256ELj1EiiN10test_utils4lessEEvPT1_PT2_T3_,comdat
.Lfunc_end28:
	.size	_Z16sort_keys_valuesILj256ELj1EiiN10test_utils4lessEEvPT1_PT2_T3_, .Lfunc_end28-_Z16sort_keys_valuesILj256ELj1EiiN10test_utils4lessEEvPT1_PT2_T3_
                                        ; -- End function
	.set _Z16sort_keys_valuesILj256ELj1EiiN10test_utils4lessEEvPT1_PT2_T3_.num_vgpr, 0
	.set _Z16sort_keys_valuesILj256ELj1EiiN10test_utils4lessEEvPT1_PT2_T3_.num_agpr, 0
	.set _Z16sort_keys_valuesILj256ELj1EiiN10test_utils4lessEEvPT1_PT2_T3_.numbered_sgpr, 0
	.set _Z16sort_keys_valuesILj256ELj1EiiN10test_utils4lessEEvPT1_PT2_T3_.num_named_barrier, 0
	.set _Z16sort_keys_valuesILj256ELj1EiiN10test_utils4lessEEvPT1_PT2_T3_.private_seg_size, 0
	.set _Z16sort_keys_valuesILj256ELj1EiiN10test_utils4lessEEvPT1_PT2_T3_.uses_vcc, 0
	.set _Z16sort_keys_valuesILj256ELj1EiiN10test_utils4lessEEvPT1_PT2_T3_.uses_flat_scratch, 0
	.set _Z16sort_keys_valuesILj256ELj1EiiN10test_utils4lessEEvPT1_PT2_T3_.has_dyn_sized_stack, 0
	.set _Z16sort_keys_valuesILj256ELj1EiiN10test_utils4lessEEvPT1_PT2_T3_.has_recursion, 0
	.set _Z16sort_keys_valuesILj256ELj1EiiN10test_utils4lessEEvPT1_PT2_T3_.has_indirect_call, 0
	.section	.AMDGPU.csdata,"",@progbits
; Kernel info:
; codeLenInByte = 4
; TotalNumSgprs: 4
; NumVgprs: 0
; ScratchSize: 0
; MemoryBound: 0
; FloatMode: 240
; IeeeMode: 1
; LDSByteSize: 0 bytes/workgroup (compile time only)
; SGPRBlocks: 0
; VGPRBlocks: 0
; NumSGPRsForWavesPerEU: 4
; NumVGPRsForWavesPerEU: 1
; Occupancy: 10
; WaveLimiterHint : 0
; COMPUTE_PGM_RSRC2:SCRATCH_EN: 0
; COMPUTE_PGM_RSRC2:USER_SGPR: 6
; COMPUTE_PGM_RSRC2:TRAP_HANDLER: 0
; COMPUTE_PGM_RSRC2:TGID_X_EN: 1
; COMPUTE_PGM_RSRC2:TGID_Y_EN: 0
; COMPUTE_PGM_RSRC2:TGID_Z_EN: 0
; COMPUTE_PGM_RSRC2:TIDIG_COMP_CNT: 0
	.section	.AMDGPU.gpr_maximums,"",@progbits
	.set amdgpu.max_num_vgpr, 0
	.set amdgpu.max_num_agpr, 0
	.set amdgpu.max_num_sgpr, 0
	.section	.AMDGPU.csdata,"",@progbits
	.type	__hip_cuid_9f1da9556869deb3,@object ; @__hip_cuid_9f1da9556869deb3
	.section	.bss,"aw",@nobits
	.globl	__hip_cuid_9f1da9556869deb3
__hip_cuid_9f1da9556869deb3:
	.byte	0                               ; 0x0
	.size	__hip_cuid_9f1da9556869deb3, 1

	.ident	"AMD clang version 22.0.0git (https://github.com/RadeonOpenCompute/llvm-project roc-7.2.4 26084 f58b06dce1f9c15707c5f808fd002e18c2accf7e)"
	.section	".note.GNU-stack","",@progbits
	.addrsig
	.addrsig_sym __hip_cuid_9f1da9556869deb3
	.amdgpu_metadata
---
amdhsa.kernels:
  - .args:
      - .address_space:  global
        .offset:         0
        .size:           8
        .value_kind:     global_buffer
      - .offset:         8
        .size:           1
        .value_kind:     by_value
    .group_segment_fixed_size: 0
    .kernarg_segment_align: 8
    .kernarg_segment_size: 12
    .language:       OpenCL C
    .language_version:
      - 2
      - 0
    .max_flat_workgroup_size: 256
    .name:           _Z9sort_keysILj256ELj7E12hip_bfloat16N10test_utils4lessEEvPT1_T2_
    .private_segment_fixed_size: 0
    .sgpr_count:     16
    .sgpr_spill_count: 0
    .symbol:         _Z9sort_keysILj256ELj7E12hip_bfloat16N10test_utils4lessEEvPT1_T2_.kd
    .uniform_work_group_size: 1
    .uses_dynamic_stack: false
    .vgpr_count:     18
    .vgpr_spill_count: 0
    .wavefront_size: 64
  - .args:
      - .address_space:  global
        .offset:         0
        .size:           8
        .value_kind:     global_buffer
      - .offset:         8
        .size:           1
        .value_kind:     by_value
    .group_segment_fixed_size: 0
    .kernarg_segment_align: 8
    .kernarg_segment_size: 12
    .language:       OpenCL C
    .language_version:
      - 2
      - 0
    .max_flat_workgroup_size: 256
    .name:           _Z9sort_keysILj256ELj6E6__halfN10test_utils4lessEEvPT1_T2_
    .private_segment_fixed_size: 0
    .sgpr_count:     14
    .sgpr_spill_count: 0
    .symbol:         _Z9sort_keysILj256ELj6E6__halfN10test_utils4lessEEvPT1_T2_.kd
    .uniform_work_group_size: 1
    .uses_dynamic_stack: false
    .vgpr_count:     16
    .vgpr_spill_count: 0
    .wavefront_size: 64
  - .args:
      - .address_space:  global
        .offset:         0
        .size:           8
        .value_kind:     global_buffer
      - .offset:         8
        .size:           1
        .value_kind:     by_value
    .group_segment_fixed_size: 0
    .kernarg_segment_align: 8
    .kernarg_segment_size: 12
    .language:       OpenCL C
    .language_version:
      - 2
      - 0
    .max_flat_workgroup_size: 256
    .name:           _Z9sort_keysILj256ELj4EN10test_utils16custom_test_typeIiEENS0_4lessEEvPT1_T2_
    .private_segment_fixed_size: 0
    .sgpr_count:     11
    .sgpr_spill_count: 0
    .symbol:         _Z9sort_keysILj256ELj4EN10test_utils16custom_test_typeIiEENS0_4lessEEvPT1_T2_.kd
    .uniform_work_group_size: 1
    .uses_dynamic_stack: false
    .vgpr_count:     19
    .vgpr_spill_count: 0
    .wavefront_size: 64
  - .args:
      - .address_space:  global
        .offset:         0
        .size:           8
        .value_kind:     global_buffer
      - .offset:         8
        .size:           1
        .value_kind:     by_value
    .group_segment_fixed_size: 0
    .kernarg_segment_align: 8
    .kernarg_segment_size: 12
    .language:       OpenCL C
    .language_version:
      - 2
      - 0
    .max_flat_workgroup_size: 256
    .name:           _Z9sort_keysILj256ELj11EdN10test_utils4lessEEvPT1_T2_
    .private_segment_fixed_size: 0
    .sgpr_count:     11
    .sgpr_spill_count: 0
    .symbol:         _Z9sort_keysILj256ELj11EdN10test_utils4lessEEvPT1_T2_.kd
    .uniform_work_group_size: 1
    .uses_dynamic_stack: false
    .vgpr_count:     31
    .vgpr_spill_count: 0
    .wavefront_size: 64
  - .args:
      - .address_space:  global
        .offset:         0
        .size:           8
        .value_kind:     global_buffer
      - .offset:         8
        .size:           1
        .value_kind:     by_value
    .group_segment_fixed_size: 0
    .kernarg_segment_align: 8
    .kernarg_segment_size: 12
    .language:       OpenCL C
    .language_version:
      - 2
      - 0
    .max_flat_workgroup_size: 256
    .name:           _Z9sort_keysILj256ELj10EhN10test_utils4lessEEvPT1_T2_
    .private_segment_fixed_size: 0
    .sgpr_count:     17
    .sgpr_spill_count: 0
    .symbol:         _Z9sort_keysILj256ELj10EhN10test_utils4lessEEvPT1_T2_.kd
    .uniform_work_group_size: 1
    .uses_dynamic_stack: false
    .vgpr_count:     18
    .vgpr_spill_count: 0
    .wavefront_size: 64
  - .args:
      - .address_space:  global
        .offset:         0
        .size:           8
        .value_kind:     global_buffer
      - .offset:         8
        .size:           1
        .value_kind:     by_value
    .group_segment_fixed_size: 0
    .kernarg_segment_align: 8
    .kernarg_segment_size: 12
    .language:       OpenCL C
    .language_version:
      - 2
      - 0
    .max_flat_workgroup_size: 256
    .name:           _Z9sort_keysILj256ELj9EyN10test_utils4lessEEvPT1_T2_
    .private_segment_fixed_size: 0
    .sgpr_count:     11
    .sgpr_spill_count: 0
    .symbol:         _Z9sort_keysILj256ELj9EyN10test_utils4lessEEvPT1_T2_.kd
    .uniform_work_group_size: 1
    .uses_dynamic_stack: false
    .vgpr_count:     29
    .vgpr_spill_count: 0
    .wavefront_size: 64
  - .args:
      - .address_space:  global
        .offset:         0
        .size:           8
        .value_kind:     global_buffer
      - .offset:         8
        .size:           1
        .value_kind:     by_value
    .group_segment_fixed_size: 0
    .kernarg_segment_align: 8
    .kernarg_segment_size: 12
    .language:       OpenCL C
    .language_version:
      - 2
      - 0
    .max_flat_workgroup_size: 256
    .name:           _Z9sort_keysILj256ELj8EtN10test_utils4lessEEvPT1_T2_
    .private_segment_fixed_size: 0
    .sgpr_count:     11
    .sgpr_spill_count: 0
    .symbol:         _Z9sort_keysILj256ELj8EtN10test_utils4lessEEvPT1_T2_.kd
    .uniform_work_group_size: 1
    .uses_dynamic_stack: false
    .vgpr_count:     17
    .vgpr_spill_count: 0
    .wavefront_size: 64
  - .args:
      - .address_space:  global
        .offset:         0
        .size:           8
        .value_kind:     global_buffer
      - .offset:         8
        .size:           1
        .value_kind:     by_value
    .group_segment_fixed_size: 0
    .kernarg_segment_align: 8
    .kernarg_segment_size: 12
    .language:       OpenCL C
    .language_version:
      - 2
      - 0
    .max_flat_workgroup_size: 256
    .name:           _Z9sort_keysILj256ELj7EiN10test_utils4lessEEvPT1_T2_
    .private_segment_fixed_size: 0
    .sgpr_count:     11
    .sgpr_spill_count: 0
    .symbol:         _Z9sort_keysILj256ELj7EiN10test_utils4lessEEvPT1_T2_.kd
    .uniform_work_group_size: 1
    .uses_dynamic_stack: false
    .vgpr_count:     15
    .vgpr_spill_count: 0
    .wavefront_size: 64
  - .args:
      - .address_space:  global
        .offset:         0
        .size:           8
        .value_kind:     global_buffer
      - .offset:         8
        .size:           1
        .value_kind:     by_value
    .group_segment_fixed_size: 0
    .kernarg_segment_align: 8
    .kernarg_segment_size: 12
    .language:       OpenCL C
    .language_version:
      - 2
      - 0
    .max_flat_workgroup_size: 256
    .name:           _Z9sort_keysILj256ELj6EfN10test_utils7greaterEEvPT1_T2_
    .private_segment_fixed_size: 0
    .sgpr_count:     11
    .sgpr_spill_count: 0
    .symbol:         _Z9sort_keysILj256ELj6EfN10test_utils7greaterEEvPT1_T2_.kd
    .uniform_work_group_size: 1
    .uses_dynamic_stack: false
    .vgpr_count:     10
    .vgpr_spill_count: 0
    .wavefront_size: 64
  - .args:
      - .address_space:  global
        .offset:         0
        .size:           8
        .value_kind:     global_buffer
      - .offset:         8
        .size:           1
        .value_kind:     by_value
    .group_segment_fixed_size: 0
    .kernarg_segment_align: 8
    .kernarg_segment_size: 12
    .language:       OpenCL C
    .language_version:
      - 2
      - 0
    .max_flat_workgroup_size: 256
    .name:           _Z9sort_keysILj256ELj5EtN10test_utils4lessEEvPT1_T2_
    .private_segment_fixed_size: 0
    .sgpr_count:     11
    .sgpr_spill_count: 0
    .symbol:         _Z9sort_keysILj256ELj5EtN10test_utils4lessEEvPT1_T2_.kd
    .uniform_work_group_size: 1
    .uses_dynamic_stack: false
    .vgpr_count:     13
    .vgpr_spill_count: 0
    .wavefront_size: 64
  - .args:
      - .address_space:  global
        .offset:         0
        .size:           8
        .value_kind:     global_buffer
      - .offset:         8
        .size:           1
        .value_kind:     by_value
    .group_segment_fixed_size: 0
    .kernarg_segment_align: 8
    .kernarg_segment_size: 12
    .language:       OpenCL C
    .language_version:
      - 2
      - 0
    .max_flat_workgroup_size: 256
    .name:           _Z9sort_keysILj256ELj4EjN10test_utils4lessEEvPT1_T2_
    .private_segment_fixed_size: 0
    .sgpr_count:     11
    .sgpr_spill_count: 0
    .symbol:         _Z9sort_keysILj256ELj4EjN10test_utils4lessEEvPT1_T2_.kd
    .uniform_work_group_size: 1
    .uses_dynamic_stack: false
    .vgpr_count:     12
    .vgpr_spill_count: 0
    .wavefront_size: 64
  - .args:
      - .address_space:  global
        .offset:         0
        .size:           8
        .value_kind:     global_buffer
      - .offset:         8
        .size:           1
        .value_kind:     by_value
    .group_segment_fixed_size: 0
    .kernarg_segment_align: 8
    .kernarg_segment_size: 12
    .language:       OpenCL C
    .language_version:
      - 2
      - 0
    .max_flat_workgroup_size: 256
    .name:           _Z9sort_keysILj256ELj3EiN10test_utils4lessEEvPT1_T2_
    .private_segment_fixed_size: 0
    .sgpr_count:     11
    .sgpr_spill_count: 0
    .symbol:         _Z9sort_keysILj256ELj3EiN10test_utils4lessEEvPT1_T2_.kd
    .uniform_work_group_size: 1
    .uses_dynamic_stack: false
    .vgpr_count:     8
    .vgpr_spill_count: 0
    .wavefront_size: 64
  - .args:
      - .address_space:  global
        .offset:         0
        .size:           8
        .value_kind:     global_buffer
      - .offset:         8
        .size:           1
        .value_kind:     by_value
    .group_segment_fixed_size: 0
    .kernarg_segment_align: 8
    .kernarg_segment_size: 12
    .language:       OpenCL C
    .language_version:
      - 2
      - 0
    .max_flat_workgroup_size: 256
    .name:           _Z9sort_keysILj256ELj2EjN10test_utils4lessEEvPT1_T2_
    .private_segment_fixed_size: 0
    .sgpr_count:     11
    .sgpr_spill_count: 0
    .symbol:         _Z9sort_keysILj256ELj2EjN10test_utils4lessEEvPT1_T2_.kd
    .uniform_work_group_size: 1
    .uses_dynamic_stack: false
    .vgpr_count:     4
    .vgpr_spill_count: 0
    .wavefront_size: 64
  - .args:
      - .address_space:  global
        .offset:         0
        .size:           8
        .value_kind:     global_buffer
      - .offset:         8
        .size:           1
        .value_kind:     by_value
    .group_segment_fixed_size: 0
    .kernarg_segment_align: 8
    .kernarg_segment_size: 12
    .language:       OpenCL C
    .language_version:
      - 2
      - 0
    .max_flat_workgroup_size: 256
    .name:           _Z9sort_keysILj256ELj1EiN10test_utils4lessEEvPT1_T2_
    .private_segment_fixed_size: 0
    .sgpr_count:     4
    .sgpr_spill_count: 0
    .symbol:         _Z9sort_keysILj256ELj1EiN10test_utils4lessEEvPT1_T2_.kd
    .uniform_work_group_size: 1
    .uses_dynamic_stack: false
    .vgpr_count:     0
    .vgpr_spill_count: 0
    .wavefront_size: 64
  - .args:
      - .address_space:  global
        .offset:         0
        .size:           8
        .value_kind:     global_buffer
      - .address_space:  global
        .offset:         8
        .size:           8
        .value_kind:     global_buffer
      - .offset:         16
        .size:           1
        .value_kind:     by_value
    .group_segment_fixed_size: 0
    .kernarg_segment_align: 8
    .kernarg_segment_size: 20
    .language:       OpenCL C
    .language_version:
      - 2
      - 0
    .max_flat_workgroup_size: 256
    .name:           _Z16sort_keys_valuesILj256ELj7E12hip_bfloat16iN10test_utils4lessEEvPT1_PT2_T3_
    .private_segment_fixed_size: 0
    .sgpr_count:     14
    .sgpr_spill_count: 0
    .symbol:         _Z16sort_keys_valuesILj256ELj7E12hip_bfloat16iN10test_utils4lessEEvPT1_PT2_T3_.kd
    .uniform_work_group_size: 1
    .uses_dynamic_stack: false
    .vgpr_count:     20
    .vgpr_spill_count: 0
    .wavefront_size: 64
  - .args:
      - .address_space:  global
        .offset:         0
        .size:           8
        .value_kind:     global_buffer
      - .address_space:  global
        .offset:         8
        .size:           8
        .value_kind:     global_buffer
      - .offset:         16
        .size:           1
        .value_kind:     by_value
    .group_segment_fixed_size: 0
    .kernarg_segment_align: 8
    .kernarg_segment_size: 20
    .language:       OpenCL C
    .language_version:
      - 2
      - 0
    .max_flat_workgroup_size: 256
    .name:           _Z16sort_keys_valuesILj256ELj6E6__halfS0_N10test_utils4lessEEvPT1_PT2_T3_
    .private_segment_fixed_size: 0
    .sgpr_count:     11
    .sgpr_spill_count: 0
    .symbol:         _Z16sort_keys_valuesILj256ELj6E6__halfS0_N10test_utils4lessEEvPT1_PT2_T3_.kd
    .uniform_work_group_size: 1
    .uses_dynamic_stack: false
    .vgpr_count:     19
    .vgpr_spill_count: 0
    .wavefront_size: 64
  - .args:
      - .address_space:  global
        .offset:         0
        .size:           8
        .value_kind:     global_buffer
      - .address_space:  global
        .offset:         8
        .size:           8
        .value_kind:     global_buffer
      - .offset:         16
        .size:           1
        .value_kind:     by_value
    .group_segment_fixed_size: 0
    .kernarg_segment_align: 8
    .kernarg_segment_size: 20
    .language:       OpenCL C
    .language_version:
      - 2
      - 0
    .max_flat_workgroup_size: 256
    .name:           _Z16sort_keys_valuesILj256ELj7E12hip_bfloat16S0_N10test_utils4lessEEvPT1_PT2_T3_
    .private_segment_fixed_size: 0
    .sgpr_count:     11
    .sgpr_spill_count: 0
    .symbol:         _Z16sort_keys_valuesILj256ELj7E12hip_bfloat16S0_N10test_utils4lessEEvPT1_PT2_T3_.kd
    .uniform_work_group_size: 1
    .uses_dynamic_stack: false
    .vgpr_count:     21
    .vgpr_spill_count: 0
    .wavefront_size: 64
  - .args:
      - .address_space:  global
        .offset:         0
        .size:           8
        .value_kind:     global_buffer
      - .address_space:  global
        .offset:         8
        .size:           8
        .value_kind:     global_buffer
      - .offset:         16
        .size:           1
        .value_kind:     by_value
    .group_segment_fixed_size: 0
    .kernarg_segment_align: 8
    .kernarg_segment_size: 20
    .language:       OpenCL C
    .language_version:
      - 2
      - 0
    .max_flat_workgroup_size: 256
    .name:           _Z16sort_keys_valuesILj256ELj4EN10test_utils16custom_test_typeIiEENS1_IcEENS0_4lessEEvPT1_PT2_T3_
    .private_segment_fixed_size: 0
    .sgpr_count:     12
    .sgpr_spill_count: 0
    .symbol:         _Z16sort_keys_valuesILj256ELj4EN10test_utils16custom_test_typeIiEENS1_IcEENS0_4lessEEvPT1_PT2_T3_.kd
    .uniform_work_group_size: 1
    .uses_dynamic_stack: false
    .vgpr_count:     28
    .vgpr_spill_count: 0
    .wavefront_size: 64
  - .args:
      - .address_space:  global
        .offset:         0
        .size:           8
        .value_kind:     global_buffer
      - .address_space:  global
        .offset:         8
        .size:           8
        .value_kind:     global_buffer
      - .offset:         16
        .size:           1
        .value_kind:     by_value
    .group_segment_fixed_size: 0
    .kernarg_segment_align: 8
    .kernarg_segment_size: 20
    .language:       OpenCL C
    .language_version:
      - 2
      - 0
    .max_flat_workgroup_size: 256
    .name:           _Z16sort_keys_valuesILj256ELj11EdxN10test_utils4lessEEvPT1_PT2_T3_
    .private_segment_fixed_size: 0
    .sgpr_count:     14
    .sgpr_spill_count: 0
    .symbol:         _Z16sort_keys_valuesILj256ELj11EdxN10test_utils4lessEEvPT1_PT2_T3_.kd
    .uniform_work_group_size: 1
    .uses_dynamic_stack: false
    .vgpr_count:     88
    .vgpr_spill_count: 0
    .wavefront_size: 64
  - .args:
      - .address_space:  global
        .offset:         0
        .size:           8
        .value_kind:     global_buffer
      - .address_space:  global
        .offset:         8
        .size:           8
        .value_kind:     global_buffer
      - .offset:         16
        .size:           1
        .value_kind:     by_value
    .group_segment_fixed_size: 0
    .kernarg_segment_align: 8
    .kernarg_segment_size: 20
    .language:       OpenCL C
    .language_version:
      - 2
      - 0
    .max_flat_workgroup_size: 256
    .name:           _Z16sort_keys_valuesILj256ELj10EhiN10test_utils4lessEEvPT1_PT2_T3_
    .private_segment_fixed_size: 0
    .sgpr_count:     27
    .sgpr_spill_count: 0
    .symbol:         _Z16sort_keys_valuesILj256ELj10EhiN10test_utils4lessEEvPT1_PT2_T3_.kd
    .uniform_work_group_size: 1
    .uses_dynamic_stack: false
    .vgpr_count:     24
    .vgpr_spill_count: 0
    .wavefront_size: 64
  - .args:
      - .address_space:  global
        .offset:         0
        .size:           8
        .value_kind:     global_buffer
      - .address_space:  global
        .offset:         8
        .size:           8
        .value_kind:     global_buffer
      - .offset:         16
        .size:           1
        .value_kind:     by_value
    .group_segment_fixed_size: 0
    .kernarg_segment_align: 8
    .kernarg_segment_size: 20
    .language:       OpenCL C
    .language_version:
      - 2
      - 0
    .max_flat_workgroup_size: 256
    .name:           _Z16sort_keys_valuesILj256ELj9EycN10test_utils4lessEEvPT1_PT2_T3_
    .private_segment_fixed_size: 0
    .sgpr_count:     20
    .sgpr_spill_count: 0
    .symbol:         _Z16sort_keys_valuesILj256ELj9EycN10test_utils4lessEEvPT1_PT2_T3_.kd
    .uniform_work_group_size: 1
    .uses_dynamic_stack: false
    .vgpr_count:     33
    .vgpr_spill_count: 0
    .wavefront_size: 64
  - .args:
      - .address_space:  global
        .offset:         0
        .size:           8
        .value_kind:     global_buffer
      - .address_space:  global
        .offset:         8
        .size:           8
        .value_kind:     global_buffer
      - .offset:         16
        .size:           1
        .value_kind:     by_value
    .group_segment_fixed_size: 0
    .kernarg_segment_align: 8
    .kernarg_segment_size: 20
    .language:       OpenCL C
    .language_version:
      - 2
      - 0
    .max_flat_workgroup_size: 256
    .name:           _Z16sort_keys_valuesILj256ELj8EtcN10test_utils4lessEEvPT1_PT2_T3_
    .private_segment_fixed_size: 0
    .sgpr_count:     19
    .sgpr_spill_count: 0
    .symbol:         _Z16sort_keys_valuesILj256ELj8EtcN10test_utils4lessEEvPT1_PT2_T3_.kd
    .uniform_work_group_size: 1
    .uses_dynamic_stack: false
    .vgpr_count:     14
    .vgpr_spill_count: 0
    .wavefront_size: 64
  - .args:
      - .address_space:  global
        .offset:         0
        .size:           8
        .value_kind:     global_buffer
      - .address_space:  global
        .offset:         8
        .size:           8
        .value_kind:     global_buffer
      - .offset:         16
        .size:           1
        .value_kind:     by_value
    .group_segment_fixed_size: 0
    .kernarg_segment_align: 8
    .kernarg_segment_size: 20
    .language:       OpenCL C
    .language_version:
      - 2
      - 0
    .max_flat_workgroup_size: 256
    .name:           _Z16sort_keys_valuesILj256ELj7EisN10test_utils4lessEEvPT1_PT2_T3_
    .private_segment_fixed_size: 0
    .sgpr_count:     12
    .sgpr_spill_count: 0
    .symbol:         _Z16sort_keys_valuesILj256ELj7EisN10test_utils4lessEEvPT1_PT2_T3_.kd
    .uniform_work_group_size: 1
    .uses_dynamic_stack: false
    .vgpr_count:     22
    .vgpr_spill_count: 0
    .wavefront_size: 64
  - .args:
      - .address_space:  global
        .offset:         0
        .size:           8
        .value_kind:     global_buffer
      - .address_space:  global
        .offset:         8
        .size:           8
        .value_kind:     global_buffer
      - .offset:         16
        .size:           1
        .value_kind:     by_value
    .group_segment_fixed_size: 0
    .kernarg_segment_align: 8
    .kernarg_segment_size: 20
    .language:       OpenCL C
    .language_version:
      - 2
      - 0
    .max_flat_workgroup_size: 256
    .name:           _Z16sort_keys_valuesILj256ELj6EfcN10test_utils7greaterEEvPT1_PT2_T3_
    .private_segment_fixed_size: 0
    .sgpr_count:     13
    .sgpr_spill_count: 0
    .symbol:         _Z16sort_keys_valuesILj256ELj6EfcN10test_utils7greaterEEvPT1_PT2_T3_.kd
    .uniform_work_group_size: 1
    .uses_dynamic_stack: false
    .vgpr_count:     14
    .vgpr_spill_count: 0
    .wavefront_size: 64
  - .args:
      - .address_space:  global
        .offset:         0
        .size:           8
        .value_kind:     global_buffer
      - .address_space:  global
        .offset:         8
        .size:           8
        .value_kind:     global_buffer
      - .offset:         16
        .size:           1
        .value_kind:     by_value
    .group_segment_fixed_size: 0
    .kernarg_segment_align: 8
    .kernarg_segment_size: 20
    .language:       OpenCL C
    .language_version:
      - 2
      - 0
    .max_flat_workgroup_size: 256
    .name:           _Z16sort_keys_valuesILj256ELj5EtcN10test_utils4lessEEvPT1_PT2_T3_
    .private_segment_fixed_size: 0
    .sgpr_count:     18
    .sgpr_spill_count: 0
    .symbol:         _Z16sort_keys_valuesILj256ELj5EtcN10test_utils4lessEEvPT1_PT2_T3_.kd
    .uniform_work_group_size: 1
    .uses_dynamic_stack: false
    .vgpr_count:     15
    .vgpr_spill_count: 0
    .wavefront_size: 64
  - .args:
      - .address_space:  global
        .offset:         0
        .size:           8
        .value_kind:     global_buffer
      - .address_space:  global
        .offset:         8
        .size:           8
        .value_kind:     global_buffer
      - .offset:         16
        .size:           1
        .value_kind:     by_value
    .group_segment_fixed_size: 0
    .kernarg_segment_align: 8
    .kernarg_segment_size: 20
    .language:       OpenCL C
    .language_version:
      - 2
      - 0
    .max_flat_workgroup_size: 256
    .name:           _Z16sort_keys_valuesILj256ELj4EjiN10test_utils4lessEEvPT1_PT2_T3_
    .private_segment_fixed_size: 0
    .sgpr_count:     11
    .sgpr_spill_count: 0
    .symbol:         _Z16sort_keys_valuesILj256ELj4EjiN10test_utils4lessEEvPT1_PT2_T3_.kd
    .uniform_work_group_size: 1
    .uses_dynamic_stack: false
    .vgpr_count:     12
    .vgpr_spill_count: 0
    .wavefront_size: 64
  - .args:
      - .address_space:  global
        .offset:         0
        .size:           8
        .value_kind:     global_buffer
      - .address_space:  global
        .offset:         8
        .size:           8
        .value_kind:     global_buffer
      - .offset:         16
        .size:           1
        .value_kind:     by_value
    .group_segment_fixed_size: 0
    .kernarg_segment_align: 8
    .kernarg_segment_size: 20
    .language:       OpenCL C
    .language_version:
      - 2
      - 0
    .max_flat_workgroup_size: 256
    .name:           _Z16sort_keys_valuesILj256ELj3EiiN10test_utils4lessEEvPT1_PT2_T3_
    .private_segment_fixed_size: 0
    .sgpr_count:     11
    .sgpr_spill_count: 0
    .symbol:         _Z16sort_keys_valuesILj256ELj3EiiN10test_utils4lessEEvPT1_PT2_T3_.kd
    .uniform_work_group_size: 1
    .uses_dynamic_stack: false
    .vgpr_count:     11
    .vgpr_spill_count: 0
    .wavefront_size: 64
  - .args:
      - .address_space:  global
        .offset:         0
        .size:           8
        .value_kind:     global_buffer
      - .address_space:  global
        .offset:         8
        .size:           8
        .value_kind:     global_buffer
      - .offset:         16
        .size:           1
        .value_kind:     by_value
    .group_segment_fixed_size: 0
    .kernarg_segment_align: 8
    .kernarg_segment_size: 20
    .language:       OpenCL C
    .language_version:
      - 2
      - 0
    .max_flat_workgroup_size: 256
    .name:           _Z16sort_keys_valuesILj256ELj2EjiN10test_utils4lessEEvPT1_PT2_T3_
    .private_segment_fixed_size: 0
    .sgpr_count:     11
    .sgpr_spill_count: 0
    .symbol:         _Z16sort_keys_valuesILj256ELj2EjiN10test_utils4lessEEvPT1_PT2_T3_.kd
    .uniform_work_group_size: 1
    .uses_dynamic_stack: false
    .vgpr_count:     6
    .vgpr_spill_count: 0
    .wavefront_size: 64
  - .args:
      - .address_space:  global
        .offset:         0
        .size:           8
        .value_kind:     global_buffer
      - .address_space:  global
        .offset:         8
        .size:           8
        .value_kind:     global_buffer
      - .offset:         16
        .size:           1
        .value_kind:     by_value
    .group_segment_fixed_size: 0
    .kernarg_segment_align: 8
    .kernarg_segment_size: 20
    .language:       OpenCL C
    .language_version:
      - 2
      - 0
    .max_flat_workgroup_size: 256
    .name:           _Z16sort_keys_valuesILj256ELj1EiiN10test_utils4lessEEvPT1_PT2_T3_
    .private_segment_fixed_size: 0
    .sgpr_count:     4
    .sgpr_spill_count: 0
    .symbol:         _Z16sort_keys_valuesILj256ELj1EiiN10test_utils4lessEEvPT1_PT2_T3_.kd
    .uniform_work_group_size: 1
    .uses_dynamic_stack: false
    .vgpr_count:     0
    .vgpr_spill_count: 0
    .wavefront_size: 64
amdhsa.target:   amdgcn-amd-amdhsa--gfx906
amdhsa.version:
  - 1
  - 2
...

	.end_amdgpu_metadata
